;; amdgpu-corpus repo=ROCm/rocFFT kind=compiled arch=gfx1030 opt=O3
	.text
	.amdgcn_target "amdgcn-amd-amdhsa--gfx1030"
	.amdhsa_code_object_version 6
	.protected	bluestein_single_fwd_len2401_dim1_sp_op_CI_CI ; -- Begin function bluestein_single_fwd_len2401_dim1_sp_op_CI_CI
	.globl	bluestein_single_fwd_len2401_dim1_sp_op_CI_CI
	.p2align	8
	.type	bluestein_single_fwd_len2401_dim1_sp_op_CI_CI,@function
bluestein_single_fwd_len2401_dim1_sp_op_CI_CI: ; @bluestein_single_fwd_len2401_dim1_sp_op_CI_CI
; %bb.0:
	s_load_dwordx4 s[12:15], s[4:5], 0x28
	v_mul_u32_u24_e32 v1, 0x53a, v0
	s_mov_b64 s[18:19], s[2:3]
	s_mov_b64 s[16:17], s[0:1]
	v_mov_b32_e32 v2, 0
	s_add_u32 s16, s16, s7
	v_lshrrev_b32_e32 v3, 16, v1
	s_addc_u32 s17, s17, 0
	s_mov_b32 s0, exec_lo
	v_add_nc_u32_e32 v1, s6, v3
	s_waitcnt lgkmcnt(0)
	v_cmpx_gt_u64_e64 s[12:13], v[1:2]
	s_cbranch_execz .LBB0_2
; %bb.1:
	s_clause 0x2
	s_load_dwordx4 s[8:11], s[4:5], 0x0
	s_load_dwordx4 s[0:3], s[4:5], 0x18
	s_load_dwordx2 s[12:13], s[4:5], 0x38
	v_mul_lo_u16 v2, v3, 49
	v_mov_b32_e32 v207, 3
	s_waitcnt lgkmcnt(0)
	s_load_dwordx4 s[4:7], s[0:1], 0x0
	s_load_dwordx4 s[0:3], s[2:3], 0x0
	v_sub_nc_u16 v104, v0, v2
	v_and_b32_e32 v6, 0xffff, v104
	v_mov_b32_e32 v37, v6
	v_lshlrev_b32_e32 v100, 3, v37
	v_mov_b32_e32 v132, v37
	v_add_co_u32 v120, null, v37, 49
	s_waitcnt lgkmcnt(0)
	v_mad_u64_u32 v[4:5], null, s2, v1, 0
	v_add_co_u32 v102, s2, s8, v100
	v_add_co_ci_u32_e64 v103, null, s9, 0, s2
	s_mul_i32 s2, s5, 0xab8
	v_add_nc_u32_e32 v133, 0x800, v100
	v_mov_b32_e32 v0, v5
	v_add_nc_u32_e32 v191, 0x2000, v100
	v_add_nc_u32_e32 v192, 0x2800, v100
	;; [unrolled: 1-line block ×4, first 2 shown]
	v_mad_u64_u32 v[2:3], null, s3, v1, v[0:1]
	s_mul_hi_u32 s3, s4, 0xab8
	v_add_nc_u32_e32 v195, 0x3800, v100
	s_add_i32 s2, s3, s2
	s_mul_i32 s3, s4, 0xab8
	v_add_co_u32 v108, null, 0x62, v37
	v_mov_b32_e32 v5, v2
	v_mad_u64_u32 v[2:3], null, s6, v1, 0
	s_mul_hi_u32 s6, s4, 0xffffc138
	v_add_co_u32 v118, null, 0x93, v37
	buffer_store_dword v4, off, s[16:19], 0 offset:336 ; 4-byte Folded Spill
	buffer_store_dword v5, off, s[16:19], 0 offset:340 ; 4-byte Folded Spill
	s_sub_i32 s6, s6, s4
	v_add_co_u32 v119, null, 0xc4, v37
	v_mov_b32_e32 v0, v3
	v_add_co_u32 v117, null, 0xf5, v37
	v_add_co_u32 v180, null, 0x126, v37
	v_mad_u64_u32 v[0:1], null, s7, v1, v[0:1]
	v_and_b32_e32 v121, 0xff, v119
	v_mov_b32_e32 v3, v0
	v_mad_u64_u32 v[0:1], null, s4, v6, 0
	s_mulk_i32 s4, 0xc138
	v_mad_u64_u32 v[4:5], null, s5, v6, v[1:2]
	v_lshlrev_b64 v[2:3], 3, v[2:3]
	s_mulk_i32 s5, 0xc138
	s_add_i32 s5, s6, s5
	s_mul_hi_u32 s6, s0, 0xffffc138
	v_mov_b32_e32 v1, v4
	global_load_dwordx2 v[4:5], v100, s[8:9]
	v_add_co_u32 v2, vcc_lo, s14, v2
	v_add_co_ci_u32_e32 v3, vcc_lo, s15, v3, vcc_lo
	v_lshlrev_b64 v[0:1], 3, v[0:1]
	s_sub_i32 s6, s6, s0
	v_add_co_u32 v0, vcc_lo, v2, v0
	v_add_co_ci_u32_e32 v1, vcc_lo, v3, v1, vcc_lo
	global_load_dwordx2 v[2:3], v[0:1], off
	v_add_co_u32 v0, vcc_lo, v0, s3
	v_add_co_ci_u32_e32 v1, vcc_lo, s2, v1, vcc_lo
	v_add_co_u32 v6, vcc_lo, 0x800, v102
	v_add_co_ci_u32_e32 v7, vcc_lo, 0, v103, vcc_lo
	s_waitcnt vmcnt(1)
	buffer_store_dword v4, off, s[16:19], 0 offset:392 ; 4-byte Folded Spill
	buffer_store_dword v5, off, s[16:19], 0 offset:396 ; 4-byte Folded Spill
	global_load_dwordx2 v[8:9], v[6:7], off offset:696
	s_waitcnt vmcnt(1)
	v_mul_f32_e32 v12, v3, v5
	v_fmac_f32_e32 v12, v2, v4
	v_mul_f32_e32 v2, v2, v5
	v_fma_f32 v13, v3, v4, -v2
	global_load_dwordx2 v[2:3], v[0:1], off
	s_waitcnt vmcnt(1)
	buffer_store_dword v8, off, s[16:19], 0 offset:384 ; 4-byte Folded Spill
	buffer_store_dword v9, off, s[16:19], 0 offset:388 ; 4-byte Folded Spill
	v_add_co_u32 v0, vcc_lo, v0, s3
	v_add_co_ci_u32_e32 v1, vcc_lo, s2, v1, vcc_lo
	s_waitcnt vmcnt(0)
	v_mul_f32_e32 v4, v3, v9
	v_fmac_f32_e32 v4, v2, v8
	v_mul_f32_e32 v2, v2, v9
	v_fma_f32 v5, v3, v8, -v2
	global_load_dwordx2 v[2:3], v[0:1], off
	ds_write_b64 v100, v[4:5] offset:2744
	v_add_co_u32 v4, vcc_lo, 0x1000, v102
	v_add_co_ci_u32_e32 v5, vcc_lo, 0, v103, vcc_lo
	v_add_co_u32 v0, vcc_lo, v0, s3
	v_add_co_ci_u32_e32 v1, vcc_lo, s2, v1, vcc_lo
	global_load_dwordx2 v[9:10], v[4:5], off offset:1392
	s_waitcnt vmcnt(0)
	buffer_store_dword v9, off, s[16:19], 0 offset:376 ; 4-byte Folded Spill
	buffer_store_dword v10, off, s[16:19], 0 offset:380 ; 4-byte Folded Spill
	v_mul_f32_e32 v8, v3, v10
	v_fmac_f32_e32 v8, v2, v9
	v_mul_f32_e32 v2, v2, v10
	v_fma_f32 v9, v3, v9, -v2
	global_load_dwordx2 v[2:3], v[0:1], off
	ds_write_b64 v100, v[8:9] offset:5488
	v_add_co_u32 v8, vcc_lo, 0x2000, v102
	v_add_co_ci_u32_e32 v9, vcc_lo, 0, v103, vcc_lo
	v_add_co_u32 v0, vcc_lo, v0, s3
	v_add_co_ci_u32_e32 v1, vcc_lo, s2, v1, vcc_lo
	global_load_dwordx2 v[14:15], v[8:9], off offset:40
	s_waitcnt vmcnt(0)
	buffer_store_dword v14, off, s[16:19], 0 offset:368 ; 4-byte Folded Spill
	buffer_store_dword v15, off, s[16:19], 0 offset:372 ; 4-byte Folded Spill
	v_mul_f32_e32 v10, v3, v15
	v_fmac_f32_e32 v10, v2, v14
	v_mul_f32_e32 v2, v2, v15
	v_fma_f32 v11, v3, v14, -v2
	v_add_co_u32 v2, vcc_lo, 0x2800, v102
	v_add_co_ci_u32_e32 v3, vcc_lo, 0, v103, vcc_lo
	ds_write_b64 v100, v[10:11] offset:8232
	global_load_dwordx2 v[10:11], v[0:1], off
	global_load_dwordx2 v[15:16], v[2:3], off offset:736
	s_waitcnt vmcnt(0)
	buffer_store_dword v15, off, s[16:19], 0 offset:360 ; 4-byte Folded Spill
	buffer_store_dword v16, off, s[16:19], 0 offset:364 ; 4-byte Folded Spill
	v_mul_f32_e32 v14, v11, v16
	v_fmac_f32_e32 v14, v10, v15
	v_mul_f32_e32 v10, v10, v16
	v_fma_f32 v15, v11, v15, -v10
	v_add_co_u32 v10, vcc_lo, v0, s3
	v_add_co_ci_u32_e32 v11, vcc_lo, s2, v1, vcc_lo
	v_add_co_u32 v0, vcc_lo, 0x3000, v102
	v_add_co_ci_u32_e32 v1, vcc_lo, 0, v103, vcc_lo
	ds_write_b64 v100, v[14:15] offset:10976
	global_load_dwordx2 v[14:15], v[10:11], off
	global_load_dwordx2 v[17:18], v[0:1], off offset:1432
	s_waitcnt vmcnt(0)
	buffer_store_dword v17, off, s[16:19], 0 offset:352 ; 4-byte Folded Spill
	buffer_store_dword v18, off, s[16:19], 0 offset:356 ; 4-byte Folded Spill
	v_mul_f32_e32 v16, v15, v18
	v_fmac_f32_e32 v16, v14, v17
	v_mul_f32_e32 v14, v14, v18
	v_fma_f32 v17, v15, v17, -v14
	v_add_co_u32 v14, vcc_lo, v10, s3
	v_add_co_ci_u32_e32 v15, vcc_lo, s2, v11, vcc_lo
	v_add_co_u32 v10, vcc_lo, 0x4000, v102
	v_add_co_ci_u32_e32 v11, vcc_lo, 0, v103, vcc_lo
	ds_write_b64 v100, v[16:17] offset:13720
	global_load_dwordx2 v[16:17], v[14:15], off
	v_add_co_u32 v14, vcc_lo, v14, s4
	global_load_dwordx2 v[19:20], v[10:11], off offset:80
	v_add_co_ci_u32_e32 v15, vcc_lo, s5, v15, vcc_lo
	s_waitcnt vmcnt(0)
	buffer_store_dword v19, off, s[16:19], 0 offset:344 ; 4-byte Folded Spill
	buffer_store_dword v20, off, s[16:19], 0 offset:348 ; 4-byte Folded Spill
	v_mul_f32_e32 v18, v17, v20
	v_fmac_f32_e32 v18, v16, v19
	v_mul_f32_e32 v16, v16, v20
	v_fma_f32 v19, v17, v19, -v16
	ds_write_b64 v100, v[18:19] offset:16464
	global_load_dwordx2 v[16:17], v[14:15], off
	global_load_dwordx2 v[19:20], v100, s[8:9] offset:392
	s_waitcnt vmcnt(0)
	buffer_store_dword v19, off, s[16:19], 0 offset:328 ; 4-byte Folded Spill
	buffer_store_dword v20, off, s[16:19], 0 offset:332 ; 4-byte Folded Spill
	v_mul_f32_e32 v18, v17, v20
	v_fmac_f32_e32 v18, v16, v19
	v_mul_f32_e32 v16, v16, v20
	v_fma_f32 v19, v17, v19, -v16
	ds_write2_b64 v100, v[12:13], v[18:19] offset1:49
	v_add_co_u32 v12, vcc_lo, v14, s3
	v_add_co_ci_u32_e32 v13, vcc_lo, s2, v15, vcc_lo
	global_load_dwordx2 v[14:15], v[12:13], off
	global_load_dwordx2 v[16:17], v[6:7], off offset:1088
	v_add_co_u32 v12, vcc_lo, v12, s3
	v_add_co_ci_u32_e32 v13, vcc_lo, s2, v13, vcc_lo
	s_waitcnt vmcnt(0)
	buffer_store_dword v16, off, s[16:19], 0 offset:320 ; 4-byte Folded Spill
	buffer_store_dword v17, off, s[16:19], 0 offset:324 ; 4-byte Folded Spill
	v_mul_f32_e32 v24, v15, v17
	v_fmac_f32_e32 v24, v14, v16
	v_mul_f32_e32 v14, v14, v17
	v_fma_f32 v25, v15, v16, -v14
	global_load_dwordx2 v[14:15], v[12:13], off
	global_load_dwordx2 v[16:17], v[4:5], off offset:1784
	v_add_co_u32 v12, vcc_lo, v12, s3
	v_add_co_ci_u32_e32 v13, vcc_lo, s2, v13, vcc_lo
	s_waitcnt vmcnt(0)
	buffer_store_dword v16, off, s[16:19], 0 offset:312 ; 4-byte Folded Spill
	buffer_store_dword v17, off, s[16:19], 0 offset:316 ; 4-byte Folded Spill
	v_mul_f32_e32 v26, v15, v17
	v_fmac_f32_e32 v26, v14, v16
	v_mul_f32_e32 v14, v14, v17
	v_fma_f32 v27, v15, v16, -v14
	global_load_dwordx2 v[14:15], v[12:13], off
	global_load_dwordx2 v[16:17], v[8:9], off offset:432
	s_waitcnt vmcnt(0)
	buffer_store_dword v16, off, s[16:19], 0 offset:304 ; 4-byte Folded Spill
	buffer_store_dword v17, off, s[16:19], 0 offset:308 ; 4-byte Folded Spill
	v_mul_f32_e32 v22, v15, v17
	v_fmac_f32_e32 v22, v14, v16
	v_mul_f32_e32 v14, v14, v17
	v_fma_f32 v23, v15, v16, -v14
	v_add_co_u32 v14, vcc_lo, v12, s3
	v_add_co_ci_u32_e32 v15, vcc_lo, s2, v13, vcc_lo
	global_load_dwordx2 v[16:17], v[14:15], off
	global_load_dwordx2 v[18:19], v[2:3], off offset:1128
	v_add_co_u32 v14, vcc_lo, v14, s3
	v_add_co_ci_u32_e32 v15, vcc_lo, s2, v15, vcc_lo
	s_waitcnt vmcnt(0)
	buffer_store_dword v18, off, s[16:19], 0 offset:264 ; 4-byte Folded Spill
	buffer_store_dword v19, off, s[16:19], 0 offset:268 ; 4-byte Folded Spill
	v_mul_f32_e32 v12, v17, v19
	v_mul_f32_e32 v13, v16, v19
	v_fmac_f32_e32 v12, v16, v18
	v_fma_f32 v13, v17, v18, -v13
	global_load_dwordx2 v[16:17], v[14:15], off
	global_load_dwordx2 v[18:19], v[0:1], off offset:1824
	v_add_co_u32 v14, vcc_lo, v14, s3
	v_add_co_ci_u32_e32 v15, vcc_lo, s2, v15, vcc_lo
	s_waitcnt vmcnt(0)
	buffer_store_dword v18, off, s[16:19], 0 offset:240 ; 4-byte Folded Spill
	buffer_store_dword v19, off, s[16:19], 0 offset:244 ; 4-byte Folded Spill
	v_mul_f32_e32 v20, v17, v19
	v_fmac_f32_e32 v20, v16, v18
	v_mul_f32_e32 v16, v16, v19
	v_fma_f32 v21, v17, v18, -v16
	global_load_dwordx2 v[17:18], v[14:15], off
	global_load_dwordx2 v[28:29], v[10:11], off offset:472
	v_add_co_u32 v14, vcc_lo, v14, s4
	v_add_co_ci_u32_e32 v15, vcc_lo, s5, v15, vcc_lo
	s_waitcnt vmcnt(0)
	buffer_store_dword v28, off, s[16:19], 0 offset:200 ; 4-byte Folded Spill
	buffer_store_dword v29, off, s[16:19], 0 offset:204 ; 4-byte Folded Spill
	v_mul_f32_e32 v16, v18, v29
	v_fmac_f32_e32 v16, v17, v28
	v_mul_f32_e32 v17, v17, v29
	v_fma_f32 v17, v18, v28, -v17
	global_load_dwordx2 v[28:29], v[14:15], off
	global_load_dwordx2 v[30:31], v100, s[8:9] offset:784
	v_add_co_u32 v14, vcc_lo, v14, s3
	v_add_co_ci_u32_e32 v15, vcc_lo, s2, v15, vcc_lo
	s_waitcnt vmcnt(0)
	buffer_store_dword v30, off, s[16:19], 0 offset:208 ; 4-byte Folded Spill
	buffer_store_dword v31, off, s[16:19], 0 offset:212 ; 4-byte Folded Spill
	v_mul_f32_e32 v18, v29, v31
	v_mul_f32_e32 v19, v28, v31
	v_fmac_f32_e32 v18, v28, v30
	v_fma_f32 v19, v29, v30, -v19
	global_load_dwordx2 v[28:29], v[14:15], off
	global_load_dwordx2 v[31:32], v[6:7], off offset:1480
	s_waitcnt vmcnt(0)
	buffer_store_dword v31, off, s[16:19], 0 offset:184 ; 4-byte Folded Spill
	buffer_store_dword v32, off, s[16:19], 0 offset:188 ; 4-byte Folded Spill
	v_mul_f32_e32 v30, v29, v32
	v_fmac_f32_e32 v30, v28, v31
	v_mul_f32_e32 v28, v28, v32
	v_fma_f32 v31, v29, v31, -v28
	ds_write2_b64 v133, v[24:25], v[30:31] offset0:136 offset1:185
	v_add_co_u32 v24, vcc_lo, v14, s3
	v_add_co_ci_u32_e32 v25, vcc_lo, s2, v15, vcc_lo
	v_add_co_u32 v14, vcc_lo, 0x1800, v102
	v_add_co_ci_u32_e32 v15, vcc_lo, 0, v103, vcc_lo
	global_load_dwordx2 v[28:29], v[24:25], off
	v_add_co_u32 v24, vcc_lo, v24, s3
	global_load_dwordx2 v[31:32], v[14:15], off offset:128
	v_add_co_ci_u32_e32 v25, vcc_lo, s2, v25, vcc_lo
	s_waitcnt vmcnt(0)
	buffer_store_dword v31, off, s[16:19], 0 offset:256 ; 4-byte Folded Spill
	buffer_store_dword v32, off, s[16:19], 0 offset:260 ; 4-byte Folded Spill
	v_mul_f32_e32 v30, v29, v32
	v_fmac_f32_e32 v30, v28, v31
	v_mul_f32_e32 v28, v28, v32
	v_fma_f32 v31, v29, v31, -v28
	v_add_nc_u32_e32 v28, 0x1400, v100
	ds_write2_b64 v28, v[26:27], v[30:31] offset0:95 offset1:144
	global_load_dwordx2 v[26:27], v[24:25], off
	global_load_dwordx2 v[29:30], v[8:9], off offset:824
	s_waitcnt vmcnt(0)
	buffer_store_dword v29, off, s[16:19], 0 offset:296 ; 4-byte Folded Spill
	buffer_store_dword v30, off, s[16:19], 0 offset:300 ; 4-byte Folded Spill
	v_mul_f32_e32 v28, v27, v30
	v_fmac_f32_e32 v28, v26, v29
	v_mul_f32_e32 v26, v26, v30
	v_fma_f32 v29, v27, v29, -v26
	ds_write2_b64 v191, v[22:23], v[28:29] offset0:54 offset1:103
	v_add_co_u32 v22, vcc_lo, v24, s3
	v_add_co_ci_u32_e32 v23, vcc_lo, s2, v25, vcc_lo
	global_load_dwordx2 v[24:25], v[22:23], off
	global_load_dwordx2 v[27:28], v[2:3], off offset:1520
	v_add_co_u32 v22, vcc_lo, v22, s3
	v_add_co_ci_u32_e32 v23, vcc_lo, s2, v23, vcc_lo
	s_waitcnt vmcnt(0)
	buffer_store_dword v27, off, s[16:19], 0 offset:280 ; 4-byte Folded Spill
	buffer_store_dword v28, off, s[16:19], 0 offset:284 ; 4-byte Folded Spill
	v_mul_f32_e32 v26, v25, v28
	v_fmac_f32_e32 v26, v24, v27
	v_mul_f32_e32 v24, v24, v28
	v_fma_f32 v27, v25, v27, -v24
	global_load_dwordx2 v[24:25], v[22:23], off
	ds_write2_b64 v192, v[12:13], v[26:27] offset0:141 offset1:190
	v_add_co_u32 v12, vcc_lo, 0x3800, v102
	v_add_co_ci_u32_e32 v13, vcc_lo, 0, v103, vcc_lo
	global_load_dwordx2 v[27:28], v[12:13], off offset:168
	s_waitcnt vmcnt(0)
	buffer_store_dword v27, off, s[16:19], 0 offset:288 ; 4-byte Folded Spill
	buffer_store_dword v28, off, s[16:19], 0 offset:292 ; 4-byte Folded Spill
	v_mul_f32_e32 v26, v25, v28
	v_fmac_f32_e32 v26, v24, v27
	v_mul_f32_e32 v24, v24, v28
	v_fma_f32 v27, v25, v27, -v24
	v_add_nc_u32_e32 v24, 0x3400, v100
	ds_write2_b64 v24, v[20:21], v[26:27] offset0:100 offset1:149
	v_add_co_u32 v20, vcc_lo, v22, s3
	v_add_co_ci_u32_e32 v21, vcc_lo, s2, v23, vcc_lo
	global_load_dwordx2 v[22:23], v[20:21], off
	global_load_dwordx2 v[25:26], v[10:11], off offset:864
	v_mov_b32_e32 v38, v24
	s_waitcnt vmcnt(0)
	buffer_store_dword v25, off, s[16:19], 0 offset:248 ; 4-byte Folded Spill
	buffer_store_dword v26, off, s[16:19], 0 offset:252 ; 4-byte Folded Spill
	v_mov_b32_e32 v115, v38
	v_mov_b32_e32 v204, v115
	v_mul_f32_e32 v24, v23, v26
	v_fmac_f32_e32 v24, v22, v25
	v_mul_f32_e32 v22, v22, v26
	v_fma_f32 v25, v23, v25, -v22
	ds_write2_b64 v193, v[16:17], v[24:25] offset0:59 offset1:108
	v_add_co_u32 v16, vcc_lo, v20, s4
	v_add_co_ci_u32_e32 v17, vcc_lo, s5, v21, vcc_lo
	global_load_dwordx2 v[20:21], v[16:17], off
	global_load_dwordx2 v[23:24], v100, s[8:9] offset:1176
	v_add_co_u32 v16, vcc_lo, v16, s3
	v_add_co_ci_u32_e32 v17, vcc_lo, s2, v17, vcc_lo
	s_waitcnt vmcnt(0)
	buffer_store_dword v23, off, s[16:19], 0 offset:272 ; 4-byte Folded Spill
	buffer_store_dword v24, off, s[16:19], 0 offset:276 ; 4-byte Folded Spill
	v_mul_f32_e32 v22, v21, v24
	v_fmac_f32_e32 v22, v20, v23
	v_mul_f32_e32 v20, v20, v24
	v_fma_f32 v23, v21, v23, -v20
	ds_write2_b64 v100, v[18:19], v[22:23] offset0:98 offset1:147
	global_load_dwordx2 v[18:19], v[16:17], off
	global_load_dwordx2 v[21:22], v[6:7], off offset:1872
	v_add_co_u32 v16, vcc_lo, v16, s3
	v_add_co_ci_u32_e32 v17, vcc_lo, s2, v17, vcc_lo
	s_waitcnt vmcnt(0)
	buffer_store_dword v21, off, s[16:19], 0 offset:232 ; 4-byte Folded Spill
	buffer_store_dword v22, off, s[16:19], 0 offset:236 ; 4-byte Folded Spill
	v_mul_f32_e32 v20, v19, v22
	v_fmac_f32_e32 v20, v18, v21
	v_mul_f32_e32 v18, v18, v22
	v_fma_f32 v21, v19, v21, -v18
	global_load_dwordx2 v[18:19], v[16:17], off
	global_load_dwordx2 v[23:24], v[14:15], off offset:520
	v_add_co_u32 v16, vcc_lo, v16, s3
	v_add_co_ci_u32_e32 v17, vcc_lo, s2, v17, vcc_lo
	s_waitcnt vmcnt(0)
	buffer_store_dword v23, off, s[16:19], 0 offset:192 ; 4-byte Folded Spill
	buffer_store_dword v24, off, s[16:19], 0 offset:196 ; 4-byte Folded Spill
	v_mul_f32_e32 v22, v19, v24
	v_fmac_f32_e32 v22, v18, v23
	v_mul_f32_e32 v18, v18, v24
	v_fma_f32 v23, v19, v23, -v18
	;; [unrolled: 11-line block ×6, first 2 shown]
	global_load_dwordx2 v[18:19], v[16:17], off
	global_load_dwordx2 v[33:34], v100, s[8:9] offset:1568
	v_add_co_u32 v16, vcc_lo, v16, s3
	v_add_co_ci_u32_e32 v17, vcc_lo, s2, v17, vcc_lo
	s_waitcnt vmcnt(0)
	buffer_store_dword v33, off, s[16:19], 0 offset:160 ; 4-byte Folded Spill
	buffer_store_dword v34, off, s[16:19], 0 offset:164 ; 4-byte Folded Spill
	v_mul_f32_e32 v32, v19, v34
	v_fmac_f32_e32 v32, v18, v33
	v_mul_f32_e32 v18, v18, v34
	v_fma_f32 v33, v19, v33, -v18
	global_load_dwordx2 v[18:19], v[16:17], off
	global_load_dwordx2 v[35:36], v[4:5], off offset:216
	v_add_co_u32 v16, vcc_lo, v16, s3
	v_add_co_ci_u32_e32 v17, vcc_lo, s2, v17, vcc_lo
	s_waitcnt vmcnt(0)
	buffer_store_dword v35, off, s[16:19], 0 offset:152 ; 4-byte Folded Spill
	buffer_store_dword v36, off, s[16:19], 0 offset:156 ; 4-byte Folded Spill
	v_mul_f32_e32 v34, v19, v36
	v_fmac_f32_e32 v34, v18, v35
	v_mul_f32_e32 v18, v18, v36
	v_fma_f32 v35, v19, v35, -v18
	v_add_nc_u32_e32 v18, 0xc00, v100
	ds_write2_b64 v18, v[20:21], v[34:35] offset0:106 offset1:155
	v_mov_b32_e32 v36, v18
	global_load_dwordx2 v[18:19], v[16:17], off
	global_load_dwordx2 v[34:35], v[14:15], off offset:912
	v_add_co_u32 v16, vcc_lo, v16, s3
	v_add_co_ci_u32_e32 v17, vcc_lo, s2, v17, vcc_lo
	v_mov_b32_e32 v116, v36
	s_waitcnt vmcnt(0)
	buffer_store_dword v34, off, s[16:19], 0 offset:144 ; 4-byte Folded Spill
	buffer_store_dword v35, off, s[16:19], 0 offset:148 ; 4-byte Folded Spill
	v_mov_b32_e32 v206, v116
	v_mul_f32_e32 v20, v19, v35
	v_fmac_f32_e32 v20, v18, v34
	v_mul_f32_e32 v18, v18, v35
	v_fma_f32 v21, v19, v34, -v18
	ds_write2_b64 v194, v[22:23], v[20:21] offset0:65 offset1:114
	global_load_dwordx2 v[18:19], v[16:17], off
	global_load_dwordx2 v[21:22], v[8:9], off offset:1608
	v_add_co_u32 v16, vcc_lo, v16, s3
	v_add_co_ci_u32_e32 v17, vcc_lo, s2, v17, vcc_lo
	s_waitcnt vmcnt(0)
	buffer_store_dword v21, off, s[16:19], 0 offset:136 ; 4-byte Folded Spill
	buffer_store_dword v22, off, s[16:19], 0 offset:140 ; 4-byte Folded Spill
	v_mul_f32_e32 v20, v19, v22
	v_fmac_f32_e32 v20, v18, v21
	v_mul_f32_e32 v18, v18, v22
	v_fma_f32 v21, v19, v21, -v18
	ds_write2_b64 v191, v[24:25], v[20:21] offset0:152 offset1:201
	global_load_dwordx2 v[18:19], v[16:17], off
	global_load_dwordx2 v[21:22], v[0:1], off offset:256
	v_add_co_u32 v16, vcc_lo, v16, s3
	v_add_co_ci_u32_e32 v17, vcc_lo, s2, v17, vcc_lo
	s_waitcnt vmcnt(0)
	buffer_store_dword v21, off, s[16:19], 0 offset:128 ; 4-byte Folded Spill
	buffer_store_dword v22, off, s[16:19], 0 offset:132 ; 4-byte Folded Spill
	v_mul_f32_e32 v20, v19, v22
	v_fmac_f32_e32 v20, v18, v21
	v_mul_f32_e32 v18, v18, v22
	v_fma_f32 v21, v19, v21, -v18
	v_add_nc_u32_e32 v18, 0x2c00, v100
	ds_write2_b64 v18, v[26:27], v[20:21] offset0:111 offset1:160
	global_load_dwordx2 v[18:19], v[16:17], off
	global_load_dwordx2 v[21:22], v[12:13], off offset:952
	v_add_co_u32 v16, vcc_lo, v16, s3
	v_add_co_ci_u32_e32 v17, vcc_lo, s2, v17, vcc_lo
	s_waitcnt vmcnt(0)
	buffer_store_dword v21, off, s[16:19], 0 offset:120 ; 4-byte Folded Spill
	buffer_store_dword v22, off, s[16:19], 0 offset:124 ; 4-byte Folded Spill
	v_mul_f32_e32 v20, v19, v22
	v_fmac_f32_e32 v20, v18, v21
	v_mul_f32_e32 v18, v18, v22
	v_fma_f32 v21, v19, v21, -v18
	ds_write2_b64 v195, v[28:29], v[20:21] offset0:70 offset1:119
	global_load_dwordx2 v[18:19], v[16:17], off
	global_load_dwordx2 v[21:22], v[10:11], off offset:1648
	v_add_co_u32 v16, vcc_lo, v16, s4
	v_add_co_ci_u32_e32 v17, vcc_lo, s5, v17, vcc_lo
	s_waitcnt vmcnt(0)
	buffer_store_dword v21, off, s[16:19], 0 offset:112 ; 4-byte Folded Spill
	buffer_store_dword v22, off, s[16:19], 0 offset:116 ; 4-byte Folded Spill
	v_mul_f32_e32 v20, v19, v22
	v_fmac_f32_e32 v20, v18, v21
	v_mul_f32_e32 v18, v18, v22
	v_fma_f32 v21, v19, v21, -v18
	ds_write2_b64 v193, v[30:31], v[20:21] offset0:157 offset1:206
	global_load_dwordx2 v[18:19], v[16:17], off
	global_load_dwordx2 v[21:22], v100, s[8:9] offset:1960
	v_add_co_u32 v16, vcc_lo, v16, s3
	v_add_co_ci_u32_e32 v17, vcc_lo, s2, v17, vcc_lo
	s_waitcnt vmcnt(0)
	buffer_store_dword v21, off, s[16:19], 0 offset:96 ; 4-byte Folded Spill
	buffer_store_dword v22, off, s[16:19], 0 offset:100 ; 4-byte Folded Spill
	v_mul_f32_e32 v20, v19, v22
	v_fmac_f32_e32 v20, v18, v21
	v_mul_f32_e32 v18, v18, v22
	v_fma_f32 v21, v19, v21, -v18
	ds_write2_b64 v100, v[32:33], v[20:21] offset0:196 offset1:245
	global_load_dwordx2 v[18:19], v[16:17], off
	global_load_dwordx2 v[20:21], v[4:5], off offset:608
	v_add_co_u32 v16, vcc_lo, v16, s3
	v_add_co_ci_u32_e32 v17, vcc_lo, s2, v17, vcc_lo
	s_waitcnt vmcnt(0)
	buffer_store_dword v20, off, s[16:19], 0 offset:48 ; 4-byte Folded Spill
	buffer_store_dword v21, off, s[16:19], 0 offset:52 ; 4-byte Folded Spill
	v_mul_f32_e32 v24, v19, v21
	v_fmac_f32_e32 v24, v18, v20
	v_mul_f32_e32 v18, v18, v21
	v_fma_f32 v25, v19, v20, -v18
	global_load_dwordx2 v[18:19], v[16:17], off
	global_load_dwordx2 v[20:21], v[14:15], off offset:1304
	v_add_co_u32 v16, vcc_lo, v16, s3
	v_add_co_ci_u32_e32 v17, vcc_lo, s2, v17, vcc_lo
	s_waitcnt vmcnt(0)
	buffer_store_dword v20, off, s[16:19], 0 offset:40 ; 4-byte Folded Spill
	buffer_store_dword v21, off, s[16:19], 0 offset:44 ; 4-byte Folded Spill
	v_mul_f32_e32 v22, v19, v21
	v_fmac_f32_e32 v22, v18, v20
	v_mul_f32_e32 v18, v18, v21
	v_fma_f32 v23, v19, v20, -v18
	global_load_dwordx2 v[18:19], v[16:17], off
	global_load_dwordx2 v[26:27], v[8:9], off offset:2000
	s_waitcnt vmcnt(0)
	buffer_store_dword v26, off, s[16:19], 0 offset:24 ; 4-byte Folded Spill
	buffer_store_dword v27, off, s[16:19], 0 offset:28 ; 4-byte Folded Spill
	v_mul_f32_e32 v8, v18, v27
	v_mul_f32_e32 v20, v19, v27
	v_fma_f32 v21, v19, v26, -v8
	v_add_co_u32 v8, vcc_lo, v16, s3
	v_add_co_ci_u32_e32 v9, vcc_lo, s2, v17, vcc_lo
	v_fmac_f32_e32 v20, v18, v26
	global_load_dwordx2 v[16:17], v[8:9], off
	global_load_dwordx2 v[26:27], v[0:1], off offset:648
	v_add_co_u32 v8, vcc_lo, v8, s3
	v_add_co_ci_u32_e32 v9, vcc_lo, s2, v9, vcc_lo
	s_waitcnt vmcnt(0)
	buffer_store_dword v26, off, s[16:19], 0 offset:16 ; 4-byte Folded Spill
	buffer_store_dword v27, off, s[16:19], 0 offset:20 ; 4-byte Folded Spill
	v_mul_f32_e32 v18, v17, v27
	v_fmac_f32_e32 v18, v16, v26
	v_mul_f32_e32 v16, v16, v27
	v_fma_f32 v19, v17, v26, -v16
	global_load_dwordx2 v[26:27], v[8:9], off
	global_load_dwordx2 v[28:29], v[12:13], off offset:1344
	s_waitcnt vmcnt(0)
	buffer_store_dword v28, off, s[16:19], 0 offset:8 ; 4-byte Folded Spill
	buffer_store_dword v29, off, s[16:19], 0 offset:12 ; 4-byte Folded Spill
	v_mul_f32_e32 v16, v27, v29
	v_mul_f32_e32 v17, v26, v29
	v_fmac_f32_e32 v16, v26, v28
	v_add_co_u32 v26, vcc_lo, v8, s3
	v_fma_f32 v17, v27, v28, -v17
	v_add_co_ci_u32_e32 v27, vcc_lo, s2, v9, vcc_lo
	global_load_dwordx2 v[28:29], v[26:27], off
	global_load_dwordx2 v[10:11], v[10:11], off offset:2040
	s_waitcnt vmcnt(0)
	buffer_store_dword v10, off, s[16:19], 0 ; 4-byte Folded Spill
	buffer_store_dword v11, off, s[16:19], 0 offset:4 ; 4-byte Folded Spill
	buffer_store_dword v132, off, s[16:19], 0 offset:400 ; 4-byte Folded Spill
	v_mul_f32_e32 v8, v29, v11
	v_mul_f32_e32 v9, v28, v11
	v_fmac_f32_e32 v8, v28, v10
	v_fma_f32 v9, v29, v10, -v9
	v_add_co_u32 v10, vcc_lo, v26, s4
	v_add_co_ci_u32_e32 v11, vcc_lo, s5, v27, vcc_lo
	global_load_dwordx2 v[26:27], v[10:11], off
	global_load_dwordx2 v[28:29], v[6:7], off offset:304
	s_mul_i32 s4, s1, 0xab8
	s_mul_hi_u32 s5, s0, 0xab8
	s_waitcnt vmcnt(0)
	buffer_store_dword v28, off, s[16:19], 0 offset:72 ; 4-byte Folded Spill
	buffer_store_dword v29, off, s[16:19], 0 offset:76 ; 4-byte Folded Spill
	s_add_i32 s4, s5, s4
	s_mul_i32 s5, s0, 0xab8
	v_mul_f32_e32 v6, v27, v29
	v_mul_f32_e32 v7, v26, v29
	v_fmac_f32_e32 v6, v26, v28
	v_fma_f32 v7, v27, v28, -v7
	ds_write_b64 v100, v[6:7] offset:2352
	v_add_co_u32 v6, vcc_lo, v10, s3
	v_add_co_ci_u32_e32 v7, vcc_lo, s2, v11, vcc_lo
	global_load_dwordx2 v[10:11], v[6:7], off
	global_load_dwordx2 v[26:27], v[4:5], off offset:1000
	s_waitcnt vmcnt(0)
	buffer_store_dword v26, off, s[16:19], 0 offset:56 ; 4-byte Folded Spill
	buffer_store_dword v27, off, s[16:19], 0 offset:60 ; 4-byte Folded Spill
	v_mul_f32_e32 v4, v11, v27
	v_mul_f32_e32 v5, v10, v27
	v_fmac_f32_e32 v4, v10, v26
	v_fma_f32 v5, v11, v26, -v5
	v_add_nc_u32_e32 v10, 0x1000, v100
	ds_write2_b64 v10, v[24:25], v[4:5] offset0:76 offset1:125
	v_add_co_u32 v4, vcc_lo, v6, s3
	v_add_co_ci_u32_e32 v5, vcc_lo, s2, v7, vcc_lo
	global_load_dwordx2 v[6:7], v[4:5], off
	global_load_dwordx2 v[14:15], v[14:15], off offset:1696
	v_mov_b32_e32 v134, v10
	v_add_co_u32 v4, vcc_lo, v4, s3
	v_add_co_ci_u32_e32 v5, vcc_lo, s2, v5, vcc_lo
	s_waitcnt vmcnt(0)
	buffer_store_dword v14, off, s[16:19], 0 offset:32 ; 4-byte Folded Spill
	buffer_store_dword v15, off, s[16:19], 0 offset:36 ; 4-byte Folded Spill
	v_mul_f32_e32 v10, v7, v15
	v_fmac_f32_e32 v10, v6, v14
	v_mul_f32_e32 v6, v6, v15
	v_fma_f32 v11, v7, v14, -v6
	ds_write2_b64 v194, v[22:23], v[10:11] offset0:163 offset1:212
	global_load_dwordx2 v[6:7], v[4:5], off
	global_load_dwordx2 v[10:11], v[2:3], off offset:344
	s_waitcnt vmcnt(0)
	buffer_store_dword v10, off, s[16:19], 0 offset:64 ; 4-byte Folded Spill
	buffer_store_dword v11, off, s[16:19], 0 offset:68 ; 4-byte Folded Spill
	v_mul_f32_e32 v2, v7, v11
	v_mul_f32_e32 v3, v6, v11
	v_fmac_f32_e32 v2, v6, v10
	v_fma_f32 v3, v7, v10, -v3
	v_add_nc_u32_e32 v6, 0x2400, v100
	ds_write2_b64 v6, v[20:21], v[2:3] offset0:122 offset1:171
	v_add_co_u32 v2, vcc_lo, v4, s3
	v_add_co_ci_u32_e32 v3, vcc_lo, s2, v5, vcc_lo
	v_mov_b32_e32 v96, v6
	global_load_dwordx2 v[4:5], v[2:3], off
	global_load_dwordx2 v[6:7], v[0:1], off offset:1040
	v_mov_b32_e32 v114, v96
	v_mov_b32_e32 v181, v114
	s_waitcnt vmcnt(0)
	v_mul_f32_e32 v0, v5, v7
	v_fmac_f32_e32 v0, v4, v6
	buffer_store_dword v6, off, s[16:19], 0 offset:88 ; 4-byte Folded Spill
	buffer_store_dword v7, off, s[16:19], 0 offset:92 ; 4-byte Folded Spill
	v_mul_f32_e32 v1, v4, v7
	v_add_nc_u32_e32 v4, 0x3000, v100
	v_fma_f32 v1, v5, v6, -v1
	v_mov_b32_e32 v205, v4
	ds_write2_b64 v4, v[18:19], v[0:1] offset0:81 offset1:130
	v_add_co_u32 v0, vcc_lo, v2, s3
	v_add_co_ci_u32_e32 v1, vcc_lo, s2, v3, vcc_lo
	global_load_dwordx2 v[2:3], v[0:1], off
	global_load_dwordx2 v[5:6], v[12:13], off offset:1736
	v_add_co_u32 v0, vcc_lo, v0, s3
	v_add_co_ci_u32_e32 v1, vcc_lo, s2, v1, vcc_lo
	s_waitcnt vmcnt(0)
	buffer_store_dword v5, off, s[16:19], 0 offset:104 ; 4-byte Folded Spill
	buffer_store_dword v6, off, s[16:19], 0 offset:108 ; 4-byte Folded Spill
	global_load_dwordx2 v[0:1], v[0:1], off
	v_mul_f32_e32 v4, v3, v6
	v_fmac_f32_e32 v4, v2, v5
	v_mul_f32_e32 v2, v2, v6
	v_fma_f32 v5, v3, v5, -v2
	v_add_co_u32 v2, vcc_lo, 0x4800, v102
	v_add_co_ci_u32_e32 v3, vcc_lo, 0, v103, vcc_lo
	ds_write2_b64 v195, v[16:17], v[4:5] offset0:168 offset1:217
	buffer_store_dword v2, off, s[16:19], 0 offset:976 ; 4-byte Folded Spill
	buffer_store_dword v3, off, s[16:19], 0 offset:980 ; 4-byte Folded Spill
	global_load_dwordx2 v[3:4], v[2:3], off offset:384
	s_waitcnt vmcnt(0)
	buffer_store_dword v3, off, s[16:19], 0 offset:80 ; 4-byte Folded Spill
	buffer_store_dword v4, off, s[16:19], 0 offset:84 ; 4-byte Folded Spill
	v_mul_f32_e32 v2, v1, v4
	v_fmac_f32_e32 v2, v0, v3
	v_mul_f32_e32 v0, v0, v4
	v_fma_f32 v3, v1, v3, -v0
	v_add_nc_u32_e32 v0, 0x4400, v100
	ds_write2_b64 v0, v[8:9], v[2:3] offset0:127 offset1:176
	v_add_nc_u32_e32 v8, 0x1c00, v100
	s_waitcnt lgkmcnt(0)
	s_waitcnt_vscnt null, 0x0
	s_barrier
	buffer_gl0_inv
	ds_read2_b64 v[68:71], v100 offset1:49
	ds_read2_b64 v[0:3], v133 offset0:38 offset1:87
	ds_read2_b64 v[84:87], v134 offset0:174 offset1:223
	;; [unrolled: 1-line block ×3, first 2 shown]
	v_mov_b32_e32 v113, v8
	ds_read2_b64 v[80:83], v192 offset0:92 offset1:141
	ds_read2_b64 v[8:11], v205 offset0:130 offset1:179
	ds_read2_b64 v[88:91], v193 offset0:10 offset1:59
	ds_read2_b64 v[92:95], v133 offset0:136 offset1:185
	ds_read2_b64 v[72:75], v191 offset0:54 offset1:103
	ds_read2_b64 v[76:79], v38 offset0:100 offset1:149
	ds_read2_b64 v[52:55], v100 offset0:98 offset1:147
	ds_read2_b64 v[60:63], v194 offset0:16 offset1:65
	ds_read2_b64 v[56:59], v192 offset0:190 offset1:239
	ds_read2_b64 v[64:67], v193 offset0:108 offset1:157
	ds_read2_b64 v[48:51], v36 offset0:106 offset1:155
	ds_read2_b64 v[40:43], v191 offset0:152 offset1:201
	ds_read2_b64 v[44:47], v195 offset0:70 offset1:119
	ds_read2_b64 v[24:27], v100 offset0:196 offset1:245
	ds_read2_b64 v[32:35], v194 offset0:114 offset1:163
	ds_read2_b64 v[28:31], v205 offset0:32 offset1:81
	ds_read2_b64 v[36:39], v193 offset0:206 offset1:255
	ds_read2_b64 v[20:23], v134 offset0:76 offset1:125
	ds_read2_b64 v[12:15], v96 offset0:122 offset1:171
	ds_read2_b64 v[16:19], v195 offset0:168 offset1:217
	ds_read_b64 v[96:97], v100 offset:18816
	s_waitcnt lgkmcnt(0)
	s_barrier
	buffer_gl0_inv
	v_mov_b32_e32 v135, v113
	v_add_f32_e32 v98, v2, v88
	v_sub_f32_e32 v2, v2, v88
	v_add_f32_e32 v88, v84, v10
	v_add_f32_e32 v99, v3, v89
	v_sub_f32_e32 v3, v3, v89
	v_add_f32_e32 v89, v85, v11
	v_sub_f32_e32 v10, v84, v10
	;; [unrolled: 2-line block ×5, first 2 shown]
	v_add_f32_e32 v81, v89, v99
	v_add_f32_e32 v80, v84, v80
	v_sub_f32_e32 v101, v88, v98
	v_sub_f32_e32 v98, v98, v84
	v_add_f32_e32 v106, v6, v10
	v_sub_f32_e32 v109, v6, v10
	v_sub_f32_e32 v111, v2, v6
	v_add_f32_e32 v81, v85, v81
	v_add_f32_e32 v6, v80, v68
	v_sub_f32_e32 v105, v89, v99
	v_sub_f32_e32 v99, v99, v85
	;; [unrolled: 1-line block ×4, first 2 shown]
	v_add_f32_e32 v107, v7, v11
	v_sub_f32_e32 v110, v7, v11
	v_sub_f32_e32 v112, v3, v7
	v_add_f32_e32 v7, v81, v69
	v_mul_f32_e32 v68, 0x3f4a47b2, v98
	v_mul_f32_e32 v98, 0xbf08b237, v109
	v_mov_b32_e32 v109, v6
	v_sub_f32_e32 v10, v10, v2
	v_sub_f32_e32 v11, v11, v3
	v_mul_f32_e32 v69, 0x3f4a47b2, v99
	v_mul_f32_e32 v84, 0x3d64c772, v88
	;; [unrolled: 1-line block ×4, first 2 shown]
	v_fmac_f32_e32 v109, 0xbf955555, v80
	v_mov_b32_e32 v80, v7
	v_add_f32_e32 v2, v106, v2
	v_add_f32_e32 v3, v107, v3
	v_mul_f32_e32 v106, 0xbf5ff5aa, v10
	v_mul_f32_e32 v107, 0xbf5ff5aa, v11
	v_fmac_f32_e32 v80, 0xbf955555, v81
	v_fmamk_f32 v81, v88, 0x3d64c772, v68
	v_fmamk_f32 v88, v89, 0x3d64c772, v69
	v_fma_f32 v84, 0x3f3bfb3b, v101, -v84
	v_fma_f32 v85, 0x3f3bfb3b, v105, -v85
	;; [unrolled: 1-line block ×3, first 2 shown]
	v_fmamk_f32 v105, v112, 0x3eae86e6, v99
	v_fma_f32 v10, 0x3f5ff5aa, v10, -v98
	v_fma_f32 v11, 0x3f5ff5aa, v11, -v99
	;; [unrolled: 1-line block ×3, first 2 shown]
	v_fmamk_f32 v101, v111, 0x3eae86e6, v98
	v_add_f32_e32 v98, v81, v109
	v_add_f32_e32 v81, v84, v109
	;; [unrolled: 1-line block ×3, first 2 shown]
	v_fmac_f32_e32 v105, 0x3ee1c552, v3
	v_fmac_f32_e32 v10, 0x3ee1c552, v2
	;; [unrolled: 1-line block ×4, first 2 shown]
	v_add_f32_e32 v99, v88, v80
	v_add_f32_e32 v109, v68, v109
	v_add_f32_e32 v111, v69, v80
	v_fmac_f32_e32 v101, 0x3ee1c552, v2
	v_add_f32_e32 v84, v98, v105
	v_sub_f32_e32 v68, v81, v11
	v_add_f32_e32 v69, v10, v110
	v_add_f32_e32 v80, v11, v81
	v_sub_f32_e32 v81, v110, v10
	v_sub_f32_e32 v10, v98, v105
	v_add_f32_e32 v98, v92, v90
	v_sub_f32_e32 v90, v92, v90
	v_add_f32_e32 v92, v86, v76
	;; [unrolled: 2-line block ×3, first 2 shown]
	v_add_f32_e32 v99, v93, v91
	v_sub_f32_e32 v91, v93, v91
	v_add_f32_e32 v93, v87, v77
	v_sub_f32_e32 v76, v86, v76
	;; [unrolled: 2-line block ×3, first 2 shown]
	v_add_f32_e32 v82, v92, v98
	v_fmac_f32_e32 v107, 0xbeae86e6, v112
	v_sub_f32_e32 v77, v87, v77
	v_add_f32_e32 v87, v73, v83
	v_sub_f32_e32 v73, v83, v73
	v_add_f32_e32 v83, v93, v99
	v_add_f32_e32 v82, v86, v82
	v_fmac_f32_e32 v106, 0x3ee1c552, v2
	v_fmac_f32_e32 v107, 0x3ee1c552, v3
	v_sub_f32_e32 v101, v92, v98
	v_add_f32_e32 v83, v87, v83
	v_add_f32_e32 v70, v82, v70
	v_sub_f32_e32 v89, v111, v106
	v_add_f32_e32 v88, v107, v109
	v_sub_f32_e32 v2, v109, v107
	;; [unrolled: 2-line block ×3, first 2 shown]
	v_sub_f32_e32 v98, v98, v86
	v_sub_f32_e32 v99, v99, v87
	;; [unrolled: 1-line block ×4, first 2 shown]
	v_add_f32_e32 v106, v72, v76
	v_add_f32_e32 v107, v73, v77
	v_sub_f32_e32 v110, v73, v77
	v_sub_f32_e32 v77, v77, v91
	v_add_f32_e32 v71, v83, v71
	v_mov_b32_e32 v111, v70
	v_sub_f32_e32 v109, v72, v76
	v_sub_f32_e32 v72, v90, v72
	;; [unrolled: 1-line block ×4, first 2 shown]
	v_add_f32_e32 v86, v106, v90
	v_add_f32_e32 v87, v107, v91
	v_mul_f32_e32 v90, 0x3f4a47b2, v98
	v_mul_f32_e32 v91, 0x3f4a47b2, v99
	;; [unrolled: 1-line block ×6, first 2 shown]
	v_fmac_f32_e32 v111, 0xbf955555, v82
	v_mov_b32_e32 v82, v71
	v_mul_f32_e32 v106, 0xbf08b237, v109
	v_mul_f32_e32 v109, 0xbf5ff5aa, v76
	v_fma_f32 v77, 0x3f5ff5aa, v77, -v107
	v_fmac_f32_e32 v110, 0xbeae86e6, v73
	v_fmac_f32_e32 v82, 0xbf955555, v83
	v_fmamk_f32 v83, v92, 0x3d64c772, v90
	v_fmamk_f32 v92, v93, 0x3d64c772, v91
	v_fma_f32 v93, 0x3f3bfb3b, v101, -v98
	v_fma_f32 v98, 0x3f3bfb3b, v105, -v99
	;; [unrolled: 1-line block ×4, first 2 shown]
	v_fmamk_f32 v99, v72, 0x3eae86e6, v106
	v_fmamk_f32 v101, v73, 0x3eae86e6, v107
	v_fma_f32 v76, 0x3f5ff5aa, v76, -v106
	v_fmac_f32_e32 v109, 0xbeae86e6, v72
	v_add_f32_e32 v72, v93, v111
	v_add_f32_e32 v73, v98, v82
	;; [unrolled: 1-line block ×3, first 2 shown]
	v_fmac_f32_e32 v77, 0x3ee1c552, v87
	v_fmac_f32_e32 v110, 0x3ee1c552, v87
	v_add_f32_e32 v106, v92, v82
	v_add_f32_e32 v107, v91, v82
	v_fmac_f32_e32 v99, 0x3ee1c552, v86
	v_fmac_f32_e32 v76, 0x3ee1c552, v86
	v_fmac_f32_e32 v109, 0x3ee1c552, v86
	v_add_f32_e32 v92, v110, v98
	v_sub_f32_e32 v82, v72, v77
	v_add_f32_e32 v86, v77, v72
	v_sub_f32_e32 v72, v98, v110
	;; [unrolled: 2-line block ×4, first 2 shown]
	v_add_f32_e32 v77, v99, v106
	v_add_f32_e32 v99, v95, v65
	v_sub_f32_e32 v65, v95, v65
	v_add_f32_e32 v95, v61, v79
	v_sub_f32_e32 v60, v60, v78
	v_add_f32_e32 v78, v74, v56
	v_sub_f32_e32 v56, v56, v74
	v_add_f32_e32 v74, v94, v98
	v_sub_f32_e32 v61, v61, v79
	v_add_f32_e32 v79, v75, v57
	v_sub_f32_e32 v57, v57, v75
	v_add_f32_e32 v75, v95, v99
	v_add_f32_e32 v74, v78, v74
	;; [unrolled: 1-line block ×3, first 2 shown]
	v_fmac_f32_e32 v101, 0x3ee1c552, v87
	v_sub_f32_e32 v93, v107, v109
	v_add_f32_e32 v75, v79, v75
	v_add_f32_e32 v52, v74, v52
	;; [unrolled: 1-line block ×4, first 2 shown]
	v_sub_f32_e32 v87, v73, v76
	v_add_f32_e32 v73, v109, v107
	v_sub_f32_e32 v76, v105, v101
	v_sub_f32_e32 v101, v94, v98
	;; [unrolled: 1-line block ×7, first 2 shown]
	v_add_f32_e32 v107, v57, v61
	v_sub_f32_e32 v110, v57, v61
	v_sub_f32_e32 v61, v61, v65
	v_add_f32_e32 v53, v75, v53
	v_mov_b32_e32 v111, v52
	v_add_f32_e32 v106, v56, v60
	v_sub_f32_e32 v109, v56, v60
	v_sub_f32_e32 v57, v65, v57
	;; [unrolled: 1-line block ×3, first 2 shown]
	v_add_f32_e32 v65, v107, v65
	v_mul_f32_e32 v78, 0x3f4a47b2, v98
	v_mul_f32_e32 v79, 0x3f4a47b2, v99
	;; [unrolled: 1-line block ×6, first 2 shown]
	v_fmac_f32_e32 v111, 0xbf955555, v74
	v_mov_b32_e32 v74, v53
	v_sub_f32_e32 v56, v64, v56
	v_add_f32_e32 v64, v106, v64
	v_mul_f32_e32 v106, 0xbf08b237, v109
	v_mul_f32_e32 v109, 0xbf5ff5aa, v60
	v_fmac_f32_e32 v74, 0xbf955555, v75
	v_fmamk_f32 v75, v94, 0x3d64c772, v78
	v_fmamk_f32 v94, v95, 0x3d64c772, v79
	v_fma_f32 v95, 0x3f3bfb3b, v101, -v98
	v_fma_f32 v98, 0x3f3bfb3b, v105, -v99
	;; [unrolled: 1-line block ×4, first 2 shown]
	v_fmac_f32_e32 v110, 0xbeae86e6, v57
	v_fma_f32 v79, 0xbf3bfb3b, v105, -v79
	v_fmamk_f32 v99, v56, 0x3eae86e6, v106
	v_fmamk_f32 v101, v57, 0x3eae86e6, v107
	v_fma_f32 v60, 0x3f5ff5aa, v60, -v106
	v_fmac_f32_e32 v109, 0xbeae86e6, v56
	v_add_f32_e32 v56, v95, v111
	v_add_f32_e32 v57, v98, v74
	;; [unrolled: 1-line block ×3, first 2 shown]
	v_fmac_f32_e32 v61, 0x3ee1c552, v65
	v_fmac_f32_e32 v110, 0x3ee1c552, v65
	v_add_f32_e32 v106, v94, v74
	v_add_f32_e32 v107, v79, v74
	v_fmac_f32_e32 v99, 0x3ee1c552, v64
	v_fmac_f32_e32 v60, 0x3ee1c552, v64
	;; [unrolled: 1-line block ×3, first 2 shown]
	v_add_f32_e32 v94, v110, v98
	v_sub_f32_e32 v64, v56, v61
	v_add_f32_e32 v74, v61, v56
	v_sub_f32_e32 v56, v98, v110
	v_add_f32_e32 v98, v48, v66
	v_sub_f32_e32 v48, v48, v66
	v_add_f32_e32 v66, v62, v44
	v_sub_f32_e32 v79, v106, v99
	v_add_f32_e32 v61, v99, v106
	v_add_f32_e32 v99, v49, v67
	v_sub_f32_e32 v49, v49, v67
	v_add_f32_e32 v67, v63, v45
	v_sub_f32_e32 v44, v62, v44
	;; [unrolled: 2-line block ×3, first 2 shown]
	v_add_f32_e32 v58, v66, v98
	v_add_f32_e32 v105, v75, v111
	v_fmac_f32_e32 v101, 0x3ee1c552, v65
	v_sub_f32_e32 v45, v63, v45
	v_add_f32_e32 v63, v41, v59
	v_sub_f32_e32 v41, v59, v41
	v_add_f32_e32 v59, v67, v99
	v_add_f32_e32 v58, v62, v58
	;; [unrolled: 1-line block ×3, first 2 shown]
	v_sub_f32_e32 v95, v107, v109
	v_add_f32_e32 v65, v60, v57
	v_sub_f32_e32 v75, v57, v60
	v_add_f32_e32 v57, v109, v107
	v_sub_f32_e32 v60, v105, v101
	v_sub_f32_e32 v101, v66, v98
	;; [unrolled: 1-line block ×3, first 2 shown]
	v_add_f32_e32 v106, v40, v44
	v_sub_f32_e32 v109, v40, v44
	v_sub_f32_e32 v111, v48, v40
	v_add_f32_e32 v59, v63, v59
	v_add_f32_e32 v40, v58, v54
	v_sub_f32_e32 v105, v67, v99
	v_sub_f32_e32 v99, v99, v63
	;; [unrolled: 1-line block ×3, first 2 shown]
	v_add_f32_e32 v107, v41, v45
	v_sub_f32_e32 v110, v41, v45
	v_sub_f32_e32 v112, v49, v41
	v_add_f32_e32 v41, v59, v55
	v_mul_f32_e32 v54, 0x3f4a47b2, v98
	v_mul_f32_e32 v98, 0xbf08b237, v109
	v_mov_b32_e32 v109, v40
	v_sub_f32_e32 v66, v62, v66
	v_sub_f32_e32 v44, v44, v48
	v_mul_f32_e32 v55, 0x3f4a47b2, v99
	v_mul_f32_e32 v63, 0x3d64c772, v67
	v_mul_f32_e32 v99, 0xbf08b237, v110
	v_fmac_f32_e32 v109, 0xbf955555, v58
	v_mov_b32_e32 v58, v41
	v_sub_f32_e32 v45, v45, v49
	v_add_f32_e32 v48, v106, v48
	v_add_f32_e32 v49, v107, v49
	v_mul_f32_e32 v62, 0x3d64c772, v66
	v_mul_f32_e32 v106, 0xbf5ff5aa, v44
	v_fmac_f32_e32 v58, 0xbf955555, v59
	v_fmamk_f32 v59, v66, 0x3d64c772, v54
	v_fmamk_f32 v66, v67, 0x3d64c772, v55
	v_fma_f32 v63, 0x3f3bfb3b, v105, -v63
	v_fma_f32 v55, 0xbf3bfb3b, v105, -v55
	v_fmamk_f32 v105, v112, 0x3eae86e6, v99
	v_mul_f32_e32 v107, 0xbf5ff5aa, v45
	v_fma_f32 v62, 0x3f3bfb3b, v101, -v62
	v_fma_f32 v54, 0xbf3bfb3b, v101, -v54
	v_fmamk_f32 v101, v111, 0x3eae86e6, v98
	v_fma_f32 v44, 0x3f5ff5aa, v44, -v98
	v_fmac_f32_e32 v106, 0xbeae86e6, v111
	v_add_f32_e32 v98, v59, v109
	v_fmac_f32_e32 v105, 0x3ee1c552, v49
	v_fma_f32 v45, 0x3f5ff5aa, v45, -v99
	v_fmac_f32_e32 v107, 0xbeae86e6, v112
	v_add_f32_e32 v99, v66, v58
	v_add_f32_e32 v59, v62, v109
	v_fmac_f32_e32 v101, 0x3ee1c552, v48
	v_fmac_f32_e32 v44, 0x3ee1c552, v48
	;; [unrolled: 1-line block ×3, first 2 shown]
	v_add_f32_e32 v62, v98, v105
	v_sub_f32_e32 v48, v98, v105
	v_add_f32_e32 v98, v50, v36
	v_sub_f32_e32 v36, v50, v36
	v_add_f32_e32 v50, v32, v46
	v_add_f32_e32 v110, v63, v58
	v_fmac_f32_e32 v45, 0x3ee1c552, v49
	v_fmac_f32_e32 v107, 0x3ee1c552, v49
	v_sub_f32_e32 v63, v99, v101
	v_add_f32_e32 v49, v101, v99
	v_add_f32_e32 v99, v51, v37
	v_sub_f32_e32 v37, v51, v37
	v_add_f32_e32 v51, v33, v47
	v_sub_f32_e32 v32, v32, v46
	;; [unrolled: 2-line block ×5, first 2 shown]
	v_add_f32_e32 v43, v51, v99
	v_add_f32_e32 v42, v46, v42
	;; [unrolled: 1-line block ×4, first 2 shown]
	v_sub_f32_e32 v54, v59, v45
	v_add_f32_e32 v43, v47, v43
	v_add_f32_e32 v24, v42, v24
	;; [unrolled: 1-line block ×3, first 2 shown]
	v_sub_f32_e32 v67, v111, v106
	v_add_f32_e32 v55, v44, v110
	v_add_f32_e32 v58, v45, v59
	v_sub_f32_e32 v59, v110, v44
	v_sub_f32_e32 v44, v109, v107
	v_add_f32_e32 v45, v106, v111
	v_sub_f32_e32 v101, v50, v98
	v_sub_f32_e32 v105, v51, v99
	;; [unrolled: 1-line block ×6, first 2 shown]
	v_add_f32_e32 v107, v29, v33
	v_sub_f32_e32 v110, v29, v33
	v_sub_f32_e32 v33, v33, v37
	v_add_f32_e32 v25, v43, v25
	v_mov_b32_e32 v111, v24
	v_add_f32_e32 v106, v28, v32
	v_sub_f32_e32 v109, v28, v32
	v_sub_f32_e32 v29, v37, v29
	;; [unrolled: 1-line block ×3, first 2 shown]
	v_add_f32_e32 v37, v107, v37
	v_mul_f32_e32 v46, 0x3f4a47b2, v98
	v_mul_f32_e32 v47, 0x3f4a47b2, v99
	;; [unrolled: 1-line block ×6, first 2 shown]
	v_fmac_f32_e32 v111, 0xbf955555, v42
	v_mov_b32_e32 v42, v25
	v_sub_f32_e32 v28, v36, v28
	v_add_f32_e32 v36, v106, v36
	v_mul_f32_e32 v106, 0xbf08b237, v109
	v_mul_f32_e32 v109, 0xbf5ff5aa, v32
	v_fmac_f32_e32 v42, 0xbf955555, v43
	v_fmamk_f32 v43, v50, 0x3d64c772, v46
	v_fmamk_f32 v50, v51, 0x3d64c772, v47
	v_fma_f32 v51, 0x3f3bfb3b, v101, -v98
	v_fma_f32 v98, 0x3f3bfb3b, v105, -v99
	;; [unrolled: 1-line block ×4, first 2 shown]
	v_fmac_f32_e32 v110, 0xbeae86e6, v29
	v_fma_f32 v47, 0xbf3bfb3b, v105, -v47
	v_fmamk_f32 v99, v28, 0x3eae86e6, v106
	v_fmamk_f32 v101, v29, 0x3eae86e6, v107
	v_fma_f32 v32, 0x3f5ff5aa, v32, -v106
	v_fmac_f32_e32 v109, 0xbeae86e6, v28
	v_add_f32_e32 v28, v51, v111
	v_add_f32_e32 v29, v98, v42
	;; [unrolled: 1-line block ×3, first 2 shown]
	v_fmac_f32_e32 v33, 0x3ee1c552, v37
	v_fmac_f32_e32 v110, 0x3ee1c552, v37
	v_add_f32_e32 v106, v50, v42
	v_add_f32_e32 v107, v47, v42
	v_fmac_f32_e32 v99, 0x3ee1c552, v36
	v_fmac_f32_e32 v32, 0x3ee1c552, v36
	;; [unrolled: 1-line block ×3, first 2 shown]
	v_add_f32_e32 v50, v110, v98
	v_sub_f32_e32 v36, v28, v33
	v_add_f32_e32 v42, v33, v28
	v_sub_f32_e32 v28, v98, v110
	v_add_f32_e32 v98, v20, v38
	v_sub_f32_e32 v20, v20, v38
	v_add_f32_e32 v38, v34, v16
	v_sub_f32_e32 v47, v106, v99
	v_add_f32_e32 v33, v99, v106
	v_add_f32_e32 v99, v21, v39
	v_sub_f32_e32 v21, v21, v39
	v_add_f32_e32 v39, v35, v17
	v_sub_f32_e32 v16, v34, v16
	;; [unrolled: 2-line block ×3, first 2 shown]
	v_add_f32_e32 v30, v38, v98
	v_add_f32_e32 v105, v43, v111
	v_fmac_f32_e32 v101, 0x3ee1c552, v37
	v_sub_f32_e32 v17, v35, v17
	v_add_f32_e32 v35, v13, v31
	v_sub_f32_e32 v13, v31, v13
	v_add_f32_e32 v31, v39, v99
	v_add_f32_e32 v30, v34, v30
	;; [unrolled: 1-line block ×3, first 2 shown]
	v_sub_f32_e32 v51, v107, v109
	v_add_f32_e32 v37, v32, v29
	v_sub_f32_e32 v43, v29, v32
	v_add_f32_e32 v29, v109, v107
	v_sub_f32_e32 v32, v105, v101
	v_sub_f32_e32 v101, v38, v98
	v_sub_f32_e32 v98, v98, v34
	v_add_f32_e32 v106, v12, v16
	v_sub_f32_e32 v109, v12, v16
	v_sub_f32_e32 v111, v20, v12
	v_add_f32_e32 v31, v35, v31
	v_add_f32_e32 v12, v30, v26
	v_sub_f32_e32 v105, v39, v99
	v_sub_f32_e32 v99, v99, v35
	;; [unrolled: 1-line block ×3, first 2 shown]
	v_add_f32_e32 v107, v13, v17
	v_sub_f32_e32 v110, v13, v17
	v_sub_f32_e32 v112, v21, v13
	v_add_f32_e32 v13, v31, v27
	v_mul_f32_e32 v26, 0x3f4a47b2, v98
	v_mul_f32_e32 v98, 0xbf08b237, v109
	v_mov_b32_e32 v109, v12
	v_sub_f32_e32 v38, v34, v38
	v_sub_f32_e32 v16, v16, v20
	v_mul_f32_e32 v27, 0x3f4a47b2, v99
	v_mul_f32_e32 v35, 0x3d64c772, v39
	;; [unrolled: 1-line block ×3, first 2 shown]
	v_fmac_f32_e32 v109, 0xbf955555, v30
	v_mov_b32_e32 v30, v13
	v_sub_f32_e32 v17, v17, v21
	v_add_f32_e32 v20, v106, v20
	v_add_f32_e32 v21, v107, v21
	v_mul_f32_e32 v34, 0x3d64c772, v38
	v_mul_f32_e32 v106, 0xbf5ff5aa, v16
	v_fmac_f32_e32 v30, 0xbf955555, v31
	v_fmamk_f32 v31, v38, 0x3d64c772, v26
	v_fmamk_f32 v38, v39, 0x3d64c772, v27
	v_fma_f32 v35, 0x3f3bfb3b, v105, -v35
	v_fma_f32 v27, 0xbf3bfb3b, v105, -v27
	v_fmamk_f32 v105, v112, 0x3eae86e6, v99
	v_mul_f32_e32 v107, 0xbf5ff5aa, v17
	v_fma_f32 v34, 0x3f3bfb3b, v101, -v34
	v_fma_f32 v26, 0xbf3bfb3b, v101, -v26
	v_fmamk_f32 v101, v111, 0x3eae86e6, v98
	v_fma_f32 v16, 0x3f5ff5aa, v16, -v98
	v_fmac_f32_e32 v106, 0xbeae86e6, v111
	v_add_f32_e32 v98, v31, v109
	v_fmac_f32_e32 v105, 0x3ee1c552, v21
	v_fma_f32 v17, 0x3f5ff5aa, v17, -v99
	v_fmac_f32_e32 v107, 0xbeae86e6, v112
	v_add_f32_e32 v99, v38, v30
	v_add_f32_e32 v31, v34, v109
	v_fmac_f32_e32 v101, 0x3ee1c552, v20
	v_fmac_f32_e32 v16, 0x3ee1c552, v20
	;; [unrolled: 1-line block ×3, first 2 shown]
	v_add_f32_e32 v34, v98, v105
	v_sub_f32_e32 v20, v98, v105
	v_add_f32_e32 v98, v22, v96
	v_sub_f32_e32 v22, v22, v96
	v_add_f32_e32 v96, v4, v18
	v_add_f32_e32 v110, v35, v30
	v_fmac_f32_e32 v17, 0x3ee1c552, v21
	v_fmac_f32_e32 v107, 0x3ee1c552, v21
	v_sub_f32_e32 v35, v99, v101
	v_add_f32_e32 v21, v101, v99
	v_add_f32_e32 v99, v23, v97
	v_sub_f32_e32 v23, v23, v97
	v_add_f32_e32 v97, v5, v19
	v_sub_f32_e32 v4, v4, v18
	;; [unrolled: 2-line block ×5, first 2 shown]
	v_add_f32_e32 v15, v97, v99
	v_add_f32_e32 v14, v18, v14
	v_add_f32_e32 v109, v26, v109
	v_add_f32_e32 v111, v27, v30
	v_sub_f32_e32 v26, v31, v17
	v_add_f32_e32 v15, v19, v15
	v_add_f32_e32 v0, v14, v0
	;; [unrolled: 1-line block ×3, first 2 shown]
	v_sub_f32_e32 v39, v111, v106
	v_add_f32_e32 v27, v16, v110
	v_add_f32_e32 v30, v17, v31
	v_sub_f32_e32 v31, v110, v16
	v_sub_f32_e32 v16, v109, v107
	v_add_f32_e32 v17, v106, v111
	v_sub_f32_e32 v101, v96, v98
	v_sub_f32_e32 v105, v97, v99
	;; [unrolled: 1-line block ×6, first 2 shown]
	v_add_f32_e32 v106, v8, v4
	v_add_f32_e32 v107, v9, v5
	v_sub_f32_e32 v109, v8, v4
	v_add_f32_e32 v1, v15, v1
	v_mov_b32_e32 v111, v0
	v_sub_f32_e32 v110, v9, v5
	v_sub_f32_e32 v8, v22, v8
	v_sub_f32_e32 v9, v23, v9
	v_sub_f32_e32 v4, v4, v22
	v_sub_f32_e32 v5, v5, v23
	v_add_f32_e32 v18, v106, v22
	v_add_f32_e32 v19, v107, v23
	v_mul_f32_e32 v22, 0x3f4a47b2, v98
	v_mul_f32_e32 v23, 0x3f4a47b2, v99
	;; [unrolled: 1-line block ×5, first 2 shown]
	v_fmac_f32_e32 v111, 0xbf955555, v14
	v_mov_b32_e32 v14, v1
	v_mul_f32_e32 v107, 0xbf08b237, v110
	v_mul_f32_e32 v109, 0xbf5ff5aa, v4
	v_mul_f32_e32 v110, 0xbf5ff5aa, v5
	v_fma_f32 v4, 0x3f5ff5aa, v4, -v106
	v_fmac_f32_e32 v14, 0xbf955555, v15
	v_fmamk_f32 v15, v96, 0x3d64c772, v22
	v_fmamk_f32 v96, v97, 0x3d64c772, v23
	v_fma_f32 v97, 0x3f3bfb3b, v101, -v98
	v_fma_f32 v98, 0x3f3bfb3b, v105, -v99
	v_fmamk_f32 v99, v8, 0x3eae86e6, v106
	v_fma_f32 v22, 0xbf3bfb3b, v101, -v22
	v_fma_f32 v23, 0xbf3bfb3b, v105, -v23
	v_fmamk_f32 v101, v9, 0x3eae86e6, v107
	v_fma_f32 v5, 0x3f5ff5aa, v5, -v107
	v_fmac_f32_e32 v110, 0xbeae86e6, v9
	v_add_f32_e32 v9, v96, v14
	v_add_f32_e32 v98, v98, v14
	v_fmac_f32_e32 v99, 0x3ee1c552, v18
	v_fmac_f32_e32 v4, 0x3ee1c552, v18
	;; [unrolled: 1-line block ×3, first 2 shown]
	v_add_f32_e32 v8, v15, v111
	v_add_f32_e32 v107, v23, v14
	v_fmac_f32_e32 v101, 0x3ee1c552, v19
	v_fmac_f32_e32 v5, 0x3ee1c552, v19
	;; [unrolled: 1-line block ×3, first 2 shown]
	v_sub_f32_e32 v23, v9, v99
	v_add_f32_e32 v15, v4, v98
	v_sub_f32_e32 v19, v98, v4
	v_add_f32_e32 v9, v99, v9
	v_mul_lo_u16 v98, v104, 7
	v_mov_b32_e32 v99, 3
	v_add_f32_e32 v105, v97, v111
	v_add_f32_e32 v106, v22, v111
	v_fmac_f32_e32 v109, 0x3ee1c552, v18
	v_add_f32_e32 v22, v8, v101
	v_lshlrev_b32_sdwa v98, v99, v98 dst_sel:DWORD dst_unused:UNUSED_PAD src0_sel:DWORD src1_sel:WORD_0
	ds_write_b64 v98, v[6:7]
	ds_write2_b64 v98, v[84:85], v[88:89] offset0:1 offset1:2
	buffer_store_dword v98, off, s[16:19], 0 offset:916 ; 4-byte Folded Spill
	ds_write2_b64 v98, v[68:69], v[80:81] offset0:3 offset1:4
	ds_write2_b64 v98, v[2:3], v[10:11] offset0:5 offset1:6
	v_mul_u32_u24_e32 v2, 7, v120
	v_sub_f32_e32 v14, v105, v5
	v_add_f32_e32 v18, v5, v105
	v_add_f32_e32 v96, v110, v106
	v_sub_f32_e32 v97, v107, v109
	v_lshlrev_b32_e32 v2, 3, v2
	ds_write_b64 v2, v[70:71]
	ds_write2_b64 v2, v[90:91], v[92:93] offset0:1 offset1:2
	buffer_store_dword v2, off, s[16:19], 0 offset:924 ; 4-byte Folded Spill
	ds_write2_b64 v2, v[82:83], v[86:87] offset0:3 offset1:4
	ds_write2_b64 v2, v[72:73], v[76:77] offset0:5 offset1:6
	v_mul_u32_u24_e32 v2, 7, v108
	v_sub_f32_e32 v4, v106, v110
	v_add_f32_e32 v5, v109, v107
	v_sub_f32_e32 v8, v8, v101
	v_lshlrev_b32_e32 v2, 3, v2
	ds_write_b64 v2, v[52:53]
	ds_write2_b64 v2, v[78:79], v[94:95] offset0:1 offset1:2
	buffer_store_dword v2, off, s[16:19], 0 offset:920 ; 4-byte Folded Spill
	ds_write2_b64 v2, v[64:65], v[74:75] offset0:3 offset1:4
	ds_write2_b64 v2, v[56:57], v[60:61] offset0:5 offset1:6
	v_mul_u32_u24_e32 v2, 7, v118
	v_lshlrev_b32_e32 v2, 3, v2
	ds_write_b64 v2, v[40:41]
	ds_write2_b64 v2, v[62:63], v[66:67] offset0:1 offset1:2
	v_and_b32_e32 v66, 0xff, v104
	buffer_store_dword v2, off, s[16:19], 0 offset:880 ; 4-byte Folded Spill
	ds_write2_b64 v2, v[54:55], v[58:59] offset0:3 offset1:4
	ds_write2_b64 v2, v[44:45], v[48:49] offset0:5 offset1:6
	v_mul_u32_u24_e32 v2, 7, v119
	v_mul_lo_u16 v66, v66, 37
	v_lshlrev_b32_e32 v2, 3, v2
	ds_write_b64 v2, v[24:25]
	ds_write2_b64 v2, v[46:47], v[50:51] offset0:1 offset1:2
	v_lshrrev_b16 v66, 8, v66
	buffer_store_dword v2, off, s[16:19], 0 offset:844 ; 4-byte Folded Spill
	ds_write2_b64 v2, v[36:37], v[42:43] offset0:3 offset1:4
	ds_write2_b64 v2, v[28:29], v[32:33] offset0:5 offset1:6
	v_mul_u32_u24_e32 v2, 7, v117
	v_sub_nc_u16 v67, v104, v66
	v_lshlrev_b32_e32 v2, 3, v2
	ds_write_b64 v2, v[12:13]
	ds_write2_b64 v2, v[34:35], v[38:39] offset0:1 offset1:2
	v_lshrrev_b16 v67, 1, v67
	buffer_store_dword v2, off, s[16:19], 0 offset:776 ; 4-byte Folded Spill
	ds_write2_b64 v2, v[26:27], v[30:31] offset0:3 offset1:4
	ds_write2_b64 v2, v[16:17], v[20:21] offset0:5 offset1:6
	v_mul_u32_u24_e32 v2, 7, v180
	v_and_b32_e32 v67, 0x7f, v67
	v_lshlrev_b32_e32 v2, 3, v2
	ds_write_b64 v2, v[0:1]
	ds_write2_b64 v2, v[22:23], v[96:97] offset0:1 offset1:2
	v_add_nc_u16 v66, v67, v66
	buffer_store_dword v2, off, s[16:19], 0 offset:692 ; 4-byte Folded Spill
	ds_write2_b64 v2, v[14:15], v[18:19] offset0:3 offset1:4
	ds_write2_b64 v2, v[4:5], v[8:9] offset0:5 offset1:6
	s_waitcnt lgkmcnt(0)
	s_waitcnt_vscnt null, 0x0
	s_barrier
	v_lshrrev_b16 v126, 2, v66
	buffer_gl0_inv
	ds_read2_b64 v[12:15], v100 offset1:49
	ds_read2_b64 v[0:3], v133 offset0:38 offset1:87
	ds_read2_b64 v[72:75], v134 offset0:174 offset1:223
	;; [unrolled: 1-line block ×14, first 2 shown]
	v_mul_lo_u16 v66, v126, 7
	ds_read2_b64 v[52:55], v191 offset0:152 offset1:201
	ds_read2_b64 v[48:51], v195 offset0:70 offset1:119
	;; [unrolled: 1-line block ×9, first 2 shown]
	ds_read_b64 v[64:65], v100 offset:18816
	v_sub_nc_u16 v66, v104, v66
	v_and_b32_e32 v127, 0xff, v66
	v_mul_u32_u24_e32 v66, 6, v127
	v_lshlrev_b32_e32 v66, 3, v66
	s_clause 0x2
	global_load_dwordx4 v[104:107], v66, s[10:11] offset:32
	global_load_dwordx4 v[109:112], v66, s[10:11] offset:16
	global_load_dwordx4 v[113:116], v66, s[10:11]
	s_waitcnt vmcnt(0)
	buffer_store_dword v113, off, s[16:19], 0 offset:616 ; 4-byte Folded Spill
	buffer_store_dword v114, off, s[16:19], 0 offset:620 ; 4-byte Folded Spill
	;; [unrolled: 1-line block ×13, first 2 shown]
	s_waitcnt lgkmcnt(23)
	v_mul_f32_e32 v66, v3, v114
	v_mul_f32_e32 v188, v2, v114
	s_waitcnt lgkmcnt(22)
	v_mul_f32_e32 v186, v72, v116
	s_waitcnt lgkmcnt(20)
	;; [unrolled: 2-line block ×3, first 2 shown]
	v_mul_f32_e32 v190, v60, v107
	v_fma_f32 v187, v2, v113, -v66
	v_mul_f32_e32 v2, v73, v116
	v_fmac_f32_e32 v188, v3, v113
	v_mul_f32_e32 v3, v30, v110
	v_fmac_f32_e32 v186, v73, v115
	v_fmac_f32_e32 v184, v89, v111
	v_fma_f32 v185, v72, v115, -v2
	v_mul_f32_e32 v2, v31, v110
	v_fmac_f32_e32 v3, v31, v109
	v_fmac_f32_e32 v190, v61, v106
	v_fma_f32 v2, v30, v109, -v2
	v_mul_f32_e32 v30, v89, v112
	v_fma_f32 v183, v88, v111, -v30
	v_mul_f32_e32 v30, v23, v105
	v_fma_f32 v189, v22, v104, -v30
	v_and_b32_e32 v30, 0xff, v120
	v_mul_f32_e32 v22, v22, v105
	v_mul_lo_u16 v30, v30, 37
	v_fmac_f32_e32 v22, v23, v104
	v_mul_f32_e32 v23, v61, v107
	v_lshrrev_b16 v30, 8, v30
	v_fma_f32 v23, v60, v106, -v23
	v_sub_nc_u16 v31, v120, v30
	v_lshrrev_b16 v31, 1, v31
	v_and_b32_e32 v31, 0x7f, v31
	v_add_nc_u16 v30, v31, v30
	v_lshrrev_b16 v124, 2, v30
	v_mul_lo_u16 v30, v124, 7
	v_sub_nc_u16 v30, v120, v30
	v_and_b32_e32 v120, 0xff, v118
	v_and_b32_e32 v125, 0xff, v30
	v_mul_u32_u24_e32 v30, 6, v125
	v_lshlrev_b32_e32 v30, 3, v30
	s_clause 0x2
	global_load_dwordx4 v[104:107], v30, s[10:11] offset:32
	global_load_dwordx4 v[109:112], v30, s[10:11] offset:16
	global_load_dwordx4 v[113:116], v30, s[10:11]
	s_waitcnt vmcnt(0)
	buffer_store_dword v113, off, s[16:19], 0 offset:780 ; 4-byte Folded Spill
	buffer_store_dword v114, off, s[16:19], 0 offset:784 ; 4-byte Folded Spill
	;; [unrolled: 1-line block ×4, first 2 shown]
	s_waitcnt lgkmcnt(15)
	v_mul_f32_e32 v178, v80, v105
	v_fmac_f32_e32 v178, v81, v104
	v_mul_f32_e32 v30, v97, v114
	v_mul_f32_e32 v168, v74, v116
	;; [unrolled: 1-line block ×3, first 2 shown]
	v_fma_f32 v169, v96, v113, -v30
	v_mul_f32_e32 v30, v75, v116
	v_fmac_f32_e32 v168, v75, v115
	v_fmac_f32_e32 v170, v97, v113
	v_fma_f32 v163, v74, v115, -v30
	v_mul_f32_e32 v30, v93, v110
	v_fma_f32 v30, v92, v109, -v30
	buffer_store_dword v109, off, s[16:19], 0 offset:796 ; 4-byte Folded Spill
	buffer_store_dword v110, off, s[16:19], 0 offset:800 ; 4-byte Folded Spill
	buffer_store_dword v111, off, s[16:19], 0 offset:804 ; 4-byte Folded Spill
	buffer_store_dword v112, off, s[16:19], 0 offset:808 ; 4-byte Folded Spill
	v_mul_f32_e32 v60, v91, v112
	v_mul_f32_e32 v31, v92, v110
	;; [unrolled: 1-line block ×3, first 2 shown]
	v_fma_f32 v171, v90, v111, -v60
	v_mul_f32_e32 v60, v81, v105
	v_fmac_f32_e32 v31, v93, v109
	v_and_b32_e32 v109, 0xff, v108
	v_fmac_f32_e32 v176, v91, v111
	v_fma_f32 v177, v80, v104, -v60
	v_mul_f32_e32 v60, v63, v107
	v_fma_f32 v179, v62, v106, -v60
	v_mul_lo_u16 v60, v109, 37
	buffer_store_dword v104, off, s[16:19], 0 offset:828 ; 4-byte Folded Spill
	buffer_store_dword v105, off, s[16:19], 0 offset:832 ; 4-byte Folded Spill
	;; [unrolled: 1-line block ×4, first 2 shown]
	v_lshrrev_b16 v60, 8, v60
	v_sub_nc_u16 v61, v108, v60
	v_lshrrev_b16 v61, 1, v61
	v_and_b32_e32 v61, 0x7f, v61
	v_add_nc_u16 v60, v61, v60
	v_lshrrev_b16 v122, 2, v60
	v_mul_lo_u16 v60, v122, 7
	v_sub_nc_u16 v60, v108, v60
	v_and_b32_e32 v123, 0xff, v60
	v_mul_u32_u24_e32 v60, 6, v123
	v_lshlrev_b32_e32 v60, 3, v60
	s_clause 0x2
	global_load_dwordx4 v[72:75], v60, s[10:11] offset:32
	global_load_dwordx4 v[88:91], v60, s[10:11] offset:16
	global_load_dwordx4 v[140:143], v60, s[10:11]
	s_waitcnt vmcnt(1)
	buffer_store_dword v88, off, s[16:19], 0 offset:900 ; 4-byte Folded Spill
	buffer_store_dword v89, off, s[16:19], 0 offset:904 ; 4-byte Folded Spill
	;; [unrolled: 1-line block ×4, first 2 shown]
	s_waitcnt vmcnt(0)
	v_mul_f32_e32 v60, v99, v141
	v_mul_f32_e32 v160, v82, v73
	;; [unrolled: 1-line block ×3, first 2 shown]
	s_waitcnt lgkmcnt(13)
	v_mul_f32_e32 v144, v84, v143
	v_mul_f32_e32 v146, v98, v141
	v_fma_f32 v145, v98, v140, -v60
	v_mul_f32_e32 v60, v85, v143
	v_fmac_f32_e32 v160, v83, v72
	v_fmac_f32_e32 v182, v63, v106
	;; [unrolled: 1-line block ×4, first 2 shown]
	v_fma_f32 v139, v84, v142, -v60
	v_mul_f32_e32 v60, v95, v89
	s_waitcnt lgkmcnt(12)
	v_mul_f32_e32 v150, v76, v91
	v_mul_f32_e32 v148, v94, v89
	v_fma_f32 v147, v94, v88, -v60
	v_mul_f32_e32 v60, v77, v91
	v_fmac_f32_e32 v150, v77, v90
	v_fmac_f32_e32 v148, v95, v88
	v_fma_f32 v149, v76, v90, -v60
	v_mul_f32_e32 v60, v83, v73
	v_fma_f32 v151, v82, v72, -v60
	s_waitcnt lgkmcnt(11)
	v_mul_f32_e32 v60, v69, v75
	v_fma_f32 v161, v68, v74, -v60
	v_mul_lo_u16 v60, v120, 37
	buffer_store_dword v72, off, s[16:19], 0 offset:884 ; 4-byte Folded Spill
	buffer_store_dword v73, off, s[16:19], 0 offset:888 ; 4-byte Folded Spill
	;; [unrolled: 1-line block ×4, first 2 shown]
	v_lshrrev_b16 v60, 8, v60
	v_sub_nc_u16 v61, v118, v60
	v_lshrrev_b16 v61, 1, v61
	v_and_b32_e32 v61, 0x7f, v61
	v_add_nc_u16 v60, v61, v60
	v_lshrrev_b16 v114, 2, v60
	v_mul_lo_u16 v60, v114, 7
	v_sub_nc_u16 v60, v118, v60
	v_and_b32_e32 v115, 0xff, v60
	v_mul_u32_u24_e32 v60, 6, v115
	v_lshlrev_b32_e32 v60, 3, v60
	s_clause 0x2
	global_load_dwordx4 v[156:159], v60, s[10:11] offset:32
	global_load_dwordx4 v[164:167], v60, s[10:11] offset:16
	global_load_dwordx4 v[172:175], v60, s[10:11]
	v_mul_f32_e32 v162, v68, v75
	v_fmac_f32_e32 v162, v69, v74
	s_waitcnt vmcnt(2) lgkmcnt(8)
	v_mul_f32_e32 v136, v48, v157
	v_mul_f32_e32 v138, v70, v159
	s_waitcnt vmcnt(0)
	v_mul_f32_e32 v60, v57, v173
	v_mul_f32_e32 v104, v56, v173
	;; [unrolled: 1-line block ×3, first 2 shown]
	v_fmac_f32_e32 v136, v49, v156
	v_mul_f32_e32 v105, v86, v175
	v_fma_f32 v101, v56, v172, -v60
	v_mul_f32_e32 v60, v49, v157
	v_mul_f32_e32 v56, v87, v175
	v_fmac_f32_e32 v104, v57, v172
	v_fmac_f32_e32 v105, v87, v174
	;; [unrolled: 1-line block ×3, first 2 shown]
	v_fma_f32 v107, v48, v156, -v60
	v_mul_f32_e32 v48, v71, v159
	v_fma_f32 v57, v86, v174, -v56
	v_mul_f32_e32 v56, v53, v165
	v_fmac_f32_e32 v138, v71, v158
	v_fma_f32 v137, v70, v158, -v48
	v_mul_lo_u16 v48, v121, 37
	v_fma_f32 v56, v52, v164, -v56
	v_mul_f32_e32 v52, v52, v165
	v_lshrrev_b16 v48, 8, v48
	v_fmac_f32_e32 v52, v53, v164
	v_mul_f32_e32 v53, v79, v167
	v_sub_nc_u16 v49, v119, v48
	v_fma_f32 v53, v78, v166, -v53
	v_lshrrev_b16 v49, 1, v49
	v_and_b32_e32 v49, 0x7f, v49
	v_add_nc_u16 v48, v49, v48
	v_sub_f32_e32 v49, v150, v148
	v_lshrrev_b16 v113, 2, v48
	v_mul_lo_u16 v48, v113, 7
	v_sub_nc_u16 v48, v119, v48
	v_and_b32_e32 v112, 0xff, v48
	v_mul_u32_u24_e32 v48, 6, v112
	v_lshlrev_b32_e32 v48, 3, v48
	s_clause 0x2
	global_load_dwordx4 v[196:199], v48, s[10:11] offset:32
	global_load_dwordx4 v[200:203], v48, s[10:11] offset:16
	global_load_dwordx4 v[208:211], v48, s[10:11]
	s_waitcnt vmcnt(2) lgkmcnt(4)
	v_mul_f32_e32 v73, v36, v199
	s_waitcnt vmcnt(1)
	v_mul_f32_e32 v69, v40, v203
	s_waitcnt vmcnt(0)
	v_mul_f32_e32 v48, v59, v209
	v_mul_f32_e32 v61, v44, v211
	;; [unrolled: 1-line block ×3, first 2 shown]
	v_fmac_f32_e32 v73, v37, v198
	v_fmac_f32_e32 v69, v41, v202
	v_fma_f32 v62, v58, v208, -v48
	v_mul_f32_e32 v48, v45, v211
	v_fmac_f32_e32 v61, v45, v210
	v_fmac_f32_e32 v71, v51, v196
	v_mul_f32_e32 v63, v58, v209
	v_mul_f32_e32 v67, v54, v201
	v_fma_f32 v60, v44, v210, -v48
	v_mul_f32_e32 v44, v55, v201
	v_sub_f32_e32 v48, v149, v147
	v_fmac_f32_e32 v63, v59, v208
	v_fmac_f32_e32 v67, v55, v200
	v_fma_f32 v66, v54, v200, -v44
	v_mul_f32_e32 v44, v41, v203
	v_fma_f32 v68, v40, v202, -v44
	v_mul_f32_e32 v40, v51, v197
	;; [unrolled: 2-line block ×3, first 2 shown]
	v_fma_f32 v72, v36, v198, -v40
	v_mov_b32_e32 v36, 0x2493
	v_mul_u32_u24_sdwa v37, v117, v36 dst_sel:DWORD dst_unused:UNUSED_PAD src0_sel:WORD_0 src1_sel:DWORD
	v_lshrrev_b32_e32 v37, 16, v37
	v_sub_nc_u16 v40, v117, v37
	v_lshrrev_b16 v40, 1, v40
	v_add_nc_u16 v37, v40, v37
	v_mov_b32_e32 v40, 3
	v_lshrrev_b16 v110, 2, v37
	v_mul_lo_u16 v37, v110, 7
	v_sub_nc_u16 v111, v117, v37
	v_mul_lo_u16 v37, v111, 6
	v_lshlrev_b32_sdwa v37, v40, v37 dst_sel:DWORD dst_unused:UNUSED_PAD src0_sel:DWORD src1_sel:WORD_0
	s_clause 0x2
	global_load_dwordx4 v[220:223], v37, s[10:11] offset:32
	global_load_dwordx4 v[224:227], v37, s[10:11] offset:16
	global_load_dwordx4 v[228:231], v37, s[10:11]
	s_waitcnt vmcnt(2) lgkmcnt(1)
	v_mul_f32_e32 v83, v16, v221
	s_waitcnt vmcnt(1)
	v_mul_f32_e32 v77, v24, v225
	s_waitcnt vmcnt(0)
	v_mul_f32_e32 v37, v33, v229
	v_mul_f32_e32 v75, v32, v229
	;; [unrolled: 1-line block ×3, first 2 shown]
	v_fmac_f32_e32 v83, v17, v220
	v_fmac_f32_e32 v77, v25, v224
	v_fma_f32 v74, v32, v228, -v37
	v_mul_f32_e32 v32, v47, v231
	v_fmac_f32_e32 v75, v33, v228
	v_fmac_f32_e32 v85, v39, v222
	v_mul_f32_e32 v79, v46, v231
	v_mul_f32_e32 v81, v42, v227
	v_fma_f32 v78, v46, v230, -v32
	v_mul_f32_e32 v32, v25, v225
	v_add_f32_e32 v25, v3, v184
	v_sub_f32_e32 v3, v184, v3
	v_fmac_f32_e32 v79, v47, v230
	v_fmac_f32_e32 v81, v43, v226
	v_fma_f32 v76, v24, v224, -v32
	v_mul_f32_e32 v24, v43, v227
	v_fma_f32 v80, v42, v226, -v24
	v_mul_f32_e32 v24, v17, v221
	;; [unrolled: 2-line block ×3, first 2 shown]
	v_add_f32_e32 v24, v2, v183
	v_sub_f32_e32 v2, v183, v2
	v_fma_f32 v84, v38, v222, -v16
	v_mul_u32_u24_sdwa v16, v180, v36 dst_sel:DWORD dst_unused:UNUSED_PAD src0_sel:WORD_0 src1_sel:DWORD
	v_lshrrev_b32_e32 v16, 16, v16
	v_sub_nc_u16 v17, v180, v16
	v_lshrrev_b16 v17, 1, v17
	v_add_nc_u16 v16, v17, v16
	v_add_f32_e32 v17, v188, v190
	v_lshrrev_b16 v98, 2, v16
	v_mul_lo_u16 v16, v98, 7
	v_sub_nc_u16 v99, v180, v16
	v_mul_lo_u16 v16, v99, 6
	v_lshlrev_b32_sdwa v16, v40, v16 dst_sel:DWORD dst_unused:UNUSED_PAD src0_sel:DWORD src1_sel:WORD_0
	s_clause 0x2
	global_load_dwordx4 v[152:155], v16, s[10:11] offset:32
	global_load_dwordx4 v[232:235], v16, s[10:11] offset:16
	global_load_dwordx4 v[236:239], v16, s[10:11]
	s_waitcnt vmcnt(0) lgkmcnt(0)
	s_waitcnt_vscnt null, 0x0
	s_barrier
	buffer_gl0_inv
	v_mul_f32_e32 v95, v18, v153
	v_mul_f32_e32 v93, v20, v235
	;; [unrolled: 1-line block ×6, first 2 shown]
	v_fmac_f32_e32 v93, v21, v234
	v_fma_f32 v86, v34, v236, -v16
	v_mul_f32_e32 v16, v29, v239
	v_fmac_f32_e32 v91, v27, v232
	v_fmac_f32_e32 v95, v19, v152
	;; [unrolled: 1-line block ×4, first 2 shown]
	v_fma_f32 v88, v28, v238, -v16
	v_mul_f32_e32 v16, v27, v233
	v_mul_f32_e32 v97, v64, v155
	v_fma_f32 v90, v26, v232, -v16
	v_mul_f32_e32 v16, v21, v235
	v_add_f32_e32 v21, v186, v22
	v_sub_f32_e32 v22, v186, v22
	v_fmac_f32_e32 v97, v65, v154
	v_fma_f32 v92, v20, v234, -v16
	v_mul_f32_e32 v16, v19, v153
	v_add_f32_e32 v20, v185, v189
	v_sub_f32_e32 v19, v188, v190
	v_add_f32_e32 v27, v21, v17
	v_sub_f32_e32 v29, v21, v17
	v_fma_f32 v94, v18, v152, -v16
	v_mul_f32_e32 v16, v65, v155
	v_sub_f32_e32 v18, v187, v23
	v_sub_f32_e32 v17, v17, v25
	;; [unrolled: 1-line block ×3, first 2 shown]
	v_add_f32_e32 v33, v3, v22
	v_fma_f32 v96, v64, v154, -v16
	v_add_f32_e32 v16, v187, v23
	v_sub_f32_e32 v23, v185, v189
	v_sub_f32_e32 v35, v3, v22
	;; [unrolled: 1-line block ×3, first 2 shown]
	v_add_f32_e32 v25, v25, v27
	v_add_f32_e32 v26, v20, v16
	v_sub_f32_e32 v28, v20, v16
	v_sub_f32_e32 v16, v16, v24
	;; [unrolled: 1-line block ×4, first 2 shown]
	v_add_f32_e32 v24, v24, v26
	v_add_f32_e32 v32, v2, v23
	v_sub_f32_e32 v36, v23, v18
	v_add_f32_e32 v23, v25, v13
	v_mul_f32_e32 v26, 0xbf08b237, v34
	v_add_f32_e32 v22, v24, v12
	v_sub_f32_e32 v2, v18, v2
	v_add_f32_e32 v18, v32, v18
	v_mul_f32_e32 v12, 0x3f4a47b2, v16
	v_mul_f32_e32 v13, 0x3f4a47b2, v17
	v_mov_b32_e32 v34, v22
	v_mul_f32_e32 v16, 0x3d64c772, v20
	v_mul_f32_e32 v17, 0x3d64c772, v21
	;; [unrolled: 1-line block ×3, first 2 shown]
	v_sub_f32_e32 v3, v19, v3
	v_fmac_f32_e32 v34, 0xbf955555, v24
	v_mov_b32_e32 v24, v23
	v_add_f32_e32 v19, v33, v19
	v_mul_f32_e32 v27, 0xbf08b237, v35
	v_mul_f32_e32 v33, 0xbf5ff5aa, v37
	v_fmamk_f32 v20, v20, 0x3d64c772, v12
	v_fmac_f32_e32 v24, 0xbf955555, v25
	v_fmamk_f32 v21, v21, 0x3d64c772, v13
	v_fma_f32 v16, 0x3f3bfb3b, v28, -v16
	v_fma_f32 v17, 0x3f3bfb3b, v29, -v17
	;; [unrolled: 1-line block ×4, first 2 shown]
	v_fmamk_f32 v28, v2, 0x3eae86e6, v26
	v_fma_f32 v26, 0x3f5ff5aa, v36, -v26
	v_fmac_f32_e32 v32, 0xbeae86e6, v2
	v_fmamk_f32 v29, v3, 0x3eae86e6, v27
	v_fma_f32 v27, 0x3f5ff5aa, v37, -v27
	v_fmac_f32_e32 v33, 0xbeae86e6, v3
	v_add_f32_e32 v17, v17, v24
	v_add_f32_e32 v35, v13, v24
	v_fmac_f32_e32 v26, 0x3ee1c552, v18
	v_fmac_f32_e32 v32, 0x3ee1c552, v18
	v_add_f32_e32 v2, v20, v34
	v_add_f32_e32 v3, v21, v24
	;; [unrolled: 1-line block ×4, first 2 shown]
	v_fmac_f32_e32 v29, 0x3ee1c552, v19
	v_fmac_f32_e32 v27, 0x3ee1c552, v19
	;; [unrolled: 1-line block ×3, first 2 shown]
	v_sub_f32_e32 v19, v35, v32
	v_add_f32_e32 v21, v26, v17
	v_sub_f32_e32 v13, v17, v26
	v_add_f32_e32 v17, v32, v35
	v_add_f32_e32 v26, v169, v179
	;; [unrolled: 1-line block ×3, first 2 shown]
	v_fmac_f32_e32 v28, 0x3ee1c552, v18
	v_add_f32_e32 v18, v33, v34
	v_sub_f32_e32 v20, v16, v27
	v_add_f32_e32 v12, v27, v16
	v_sub_f32_e32 v16, v34, v33
	v_add_f32_e32 v27, v170, v182
	v_add_f32_e32 v33, v168, v178
	;; [unrolled: 1-line block ×4, first 2 shown]
	v_sub_f32_e32 v25, v3, v28
	v_add_f32_e32 v3, v28, v3
	v_sub_f32_e32 v28, v169, v179
	v_sub_f32_e32 v34, v163, v177
	v_add_f32_e32 v37, v31, v176
	v_sub_f32_e32 v30, v171, v30
	v_add_f32_e32 v39, v33, v27
	v_sub_f32_e32 v40, v32, v26
	v_sub_f32_e32 v26, v26, v36
	;; [unrolled: 1-line block ×3, first 2 shown]
	v_add_f32_e32 v36, v36, v38
	v_add_f32_e32 v24, v29, v2
	v_sub_f32_e32 v2, v2, v29
	v_sub_f32_e32 v29, v170, v182
	;; [unrolled: 1-line block ×7, first 2 shown]
	v_add_f32_e32 v42, v30, v34
	v_sub_f32_e32 v44, v30, v34
	v_sub_f32_e32 v46, v34, v28
	v_add_f32_e32 v37, v37, v39
	v_add_f32_e32 v34, v36, v14
	;; [unrolled: 1-line block ×3, first 2 shown]
	v_sub_f32_e32 v45, v31, v35
	v_sub_f32_e32 v47, v35, v29
	v_add_f32_e32 v35, v37, v15
	v_mul_f32_e32 v38, 0xbf08b237, v44
	v_mov_b32_e32 v44, v34
	v_sub_f32_e32 v30, v28, v30
	v_add_f32_e32 v28, v42, v28
	v_mul_f32_e32 v15, 0x3f4a47b2, v27
	v_mul_f32_e32 v42, 0xbf5ff5aa, v46
	v_fmac_f32_e32 v44, 0xbf955555, v36
	v_mov_b32_e32 v36, v35
	v_sub_f32_e32 v31, v29, v31
	v_add_f32_e32 v29, v43, v29
	v_mul_f32_e32 v14, 0x3f4a47b2, v26
	v_mul_f32_e32 v27, 0x3d64c772, v33
	;; [unrolled: 1-line block ×4, first 2 shown]
	v_fmac_f32_e32 v36, 0xbf955555, v37
	v_fmamk_f32 v33, v33, 0x3d64c772, v15
	v_fma_f32 v15, 0xbf3bfb3b, v41, -v15
	v_fmac_f32_e32 v42, 0xbeae86e6, v30
	v_mul_f32_e32 v26, 0x3d64c772, v32
	v_fmamk_f32 v32, v32, 0x3d64c772, v14
	v_fma_f32 v27, 0x3f3bfb3b, v41, -v27
	v_fma_f32 v14, 0xbf3bfb3b, v40, -v14
	v_fmamk_f32 v37, v30, 0x3eae86e6, v38
	v_fmamk_f32 v45, v31, 0x3eae86e6, v39
	v_fma_f32 v39, 0x3f5ff5aa, v47, -v39
	v_fmac_f32_e32 v43, 0xbeae86e6, v31
	v_add_f32_e32 v15, v15, v36
	v_fmac_f32_e32 v42, 0x3ee1c552, v28
	v_fma_f32 v38, 0x3f5ff5aa, v46, -v38
	v_add_f32_e32 v46, v32, v44
	v_add_f32_e32 v47, v33, v36
	;; [unrolled: 1-line block ×4, first 2 shown]
	v_fmac_f32_e32 v37, 0x3ee1c552, v28
	v_fmac_f32_e32 v45, 0x3ee1c552, v29
	;; [unrolled: 1-line block ×4, first 2 shown]
	v_sub_f32_e32 v31, v15, v42
	v_add_f32_e32 v29, v42, v15
	v_add_f32_e32 v36, v145, v161
	;; [unrolled: 1-line block ×3, first 2 shown]
	v_fma_f32 v26, 0x3f3bfb3b, v40, -v26
	v_fmac_f32_e32 v38, 0x3ee1c552, v28
	v_add_f32_e32 v40, v45, v46
	v_sub_f32_e32 v41, v47, v37
	v_add_f32_e32 v30, v43, v14
	v_sub_f32_e32 v28, v14, v43
	v_sub_f32_e32 v14, v46, v45
	v_add_f32_e32 v15, v37, v47
	v_add_f32_e32 v37, v146, v162
	;; [unrolled: 1-line block ×8, first 2 shown]
	v_sub_f32_e32 v44, v139, v151
	v_add_f32_e32 v50, v46, v50
	v_sub_f32_e32 v45, v144, v160
	v_sub_f32_e32 v54, v42, v36
	;; [unrolled: 1-line block ×4, first 2 shown]
	v_add_f32_e32 v51, v47, v51
	v_add_f32_e32 v46, v50, v8
	v_sub_f32_e32 v32, v26, v39
	v_add_f32_e32 v33, v38, v27
	v_add_f32_e32 v26, v39, v26
	v_sub_f32_e32 v27, v27, v38
	v_sub_f32_e32 v38, v145, v161
	;; [unrolled: 1-line block ×6, first 2 shown]
	v_add_f32_e32 v58, v48, v44
	v_add_f32_e32 v59, v49, v45
	v_sub_f32_e32 v64, v48, v44
	v_sub_f32_e32 v65, v49, v45
	v_add_f32_e32 v47, v51, v9
	v_mov_b32_e32 v116, v46
	v_sub_f32_e32 v48, v38, v48
	v_sub_f32_e32 v49, v39, v49
	;; [unrolled: 1-line block ×4, first 2 shown]
	v_add_f32_e32 v38, v58, v38
	v_add_f32_e32 v39, v59, v39
	v_mul_f32_e32 v8, 0x3f4a47b2, v36
	v_mul_f32_e32 v9, 0x3f4a47b2, v37
	;; [unrolled: 1-line block ×6, first 2 shown]
	v_fmac_f32_e32 v116, 0xbf955555, v50
	v_mov_b32_e32 v50, v47
	v_mul_f32_e32 v64, 0xbf5ff5aa, v44
	v_mul_f32_e32 v65, 0xbf5ff5aa, v45
	v_fmamk_f32 v43, v43, 0x3d64c772, v9
	v_fma_f32 v36, 0x3f3bfb3b, v54, -v36
	v_fmac_f32_e32 v50, 0xbf955555, v51
	v_fma_f32 v37, 0x3f3bfb3b, v55, -v37
	v_fma_f32 v9, 0xbf3bfb3b, v55, -v9
	v_fmamk_f32 v51, v48, 0x3eae86e6, v58
	v_fma_f32 v55, 0x3f5ff5aa, v44, -v58
	v_fma_f32 v58, 0x3f5ff5aa, v45, -v59
	v_fmamk_f32 v42, v42, 0x3d64c772, v8
	v_fma_f32 v8, 0xbf3bfb3b, v54, -v8
	v_fmamk_f32 v54, v49, 0x3eae86e6, v59
	v_fmac_f32_e32 v64, 0xbeae86e6, v48
	v_fmac_f32_e32 v65, 0xbeae86e6, v49
	v_add_f32_e32 v36, v36, v116
	v_fmac_f32_e32 v58, 0x3ee1c552, v39
	v_add_f32_e32 v59, v42, v116
	v_add_f32_e32 v128, v43, v50
	;; [unrolled: 1-line block ×5, first 2 shown]
	v_fmac_f32_e32 v51, 0x3ee1c552, v38
	v_fmac_f32_e32 v54, 0x3ee1c552, v39
	;; [unrolled: 1-line block ×4, first 2 shown]
	v_sub_f32_e32 v44, v36, v58
	v_add_f32_e32 v36, v58, v36
	v_add_f32_e32 v50, v101, v137
	;; [unrolled: 1-line block ×3, first 2 shown]
	v_fmac_f32_e32 v55, 0x3ee1c552, v38
	v_add_f32_e32 v48, v54, v59
	v_sub_f32_e32 v49, v128, v51
	v_add_f32_e32 v42, v65, v8
	v_sub_f32_e32 v43, v9, v64
	v_sub_f32_e32 v38, v8, v65
	v_add_f32_e32 v39, v64, v9
	v_sub_f32_e32 v8, v59, v54
	v_add_f32_e32 v9, v51, v128
	v_add_f32_e32 v51, v104, v138
	;; [unrolled: 1-line block ×3, first 2 shown]
	v_sub_f32_e32 v57, v57, v107
	v_add_f32_e32 v65, v56, v53
	v_sub_f32_e32 v53, v53, v56
	v_add_f32_e32 v56, v58, v50
	v_add_f32_e32 v45, v55, v37
	v_sub_f32_e32 v37, v37, v55
	v_sub_f32_e32 v54, v101, v137
	;; [unrolled: 1-line block ×4, first 2 shown]
	v_add_f32_e32 v101, v52, v106
	v_sub_f32_e32 v52, v106, v52
	v_add_f32_e32 v104, v59, v51
	v_sub_f32_e32 v105, v58, v50
	v_sub_f32_e32 v107, v65, v58
	v_add_f32_e32 v58, v53, v57
	v_add_f32_e32 v56, v65, v56
	v_sub_f32_e32 v106, v59, v51
	v_sub_f32_e32 v50, v50, v65
	v_sub_f32_e32 v116, v101, v59
	v_add_f32_e32 v59, v52, v64
	v_sub_f32_e32 v128, v53, v57
	v_sub_f32_e32 v53, v54, v53
	;; [unrolled: 1-line block ×3, first 2 shown]
	v_add_f32_e32 v65, v101, v104
	v_add_f32_e32 v54, v58, v54
	;; [unrolled: 1-line block ×3, first 2 shown]
	v_sub_f32_e32 v51, v51, v101
	v_sub_f32_e32 v129, v52, v64
	;; [unrolled: 1-line block ×4, first 2 shown]
	v_add_f32_e32 v55, v59, v55
	v_add_f32_e32 v59, v65, v11
	v_mov_b32_e32 v130, v58
	v_mul_f32_e32 v10, 0x3f4a47b2, v50
	v_mul_f32_e32 v11, 0x3f4a47b2, v51
	;; [unrolled: 1-line block ×5, first 2 shown]
	v_fmac_f32_e32 v130, 0xbf955555, v56
	v_mov_b32_e32 v56, v59
	v_mul_f32_e32 v104, 0xbf08b237, v129
	v_fma_f32 v50, 0x3f3bfb3b, v105, -v50
	v_fma_f32 v51, 0x3f3bfb3b, v106, -v51
	v_mul_f32_e32 v128, 0xbf5ff5aa, v57
	v_fmac_f32_e32 v56, 0xbf955555, v65
	v_fmamk_f32 v65, v107, 0x3d64c772, v10
	v_fma_f32 v10, 0xbf3bfb3b, v105, -v10
	v_fmamk_f32 v105, v53, 0x3eae86e6, v101
	v_fma_f32 v101, 0x3f5ff5aa, v57, -v101
	;; [unrolled: 2-line block ×4, first 2 shown]
	v_add_f32_e32 v51, v51, v56
	v_fmac_f32_e32 v101, 0x3ee1c552, v54
	v_add_f32_e32 v50, v50, v130
	v_mul_f32_e32 v129, 0xbf5ff5aa, v64
	v_fmac_f32_e32 v104, 0x3ee1c552, v55
	v_fmac_f32_e32 v128, 0xbeae86e6, v53
	v_add_f32_e32 v57, v101, v51
	v_sub_f32_e32 v51, v51, v101
	v_add_f32_e32 v101, v62, v72
	v_sub_f32_e32 v62, v62, v72
	v_add_f32_e32 v72, v60, v70
	v_add_f32_e32 v107, v107, v56
	;; [unrolled: 1-line block ×3, first 2 shown]
	v_sub_f32_e32 v56, v50, v104
	v_add_f32_e32 v50, v104, v50
	v_add_f32_e32 v104, v63, v73
	v_sub_f32_e32 v63, v63, v73
	v_add_f32_e32 v73, v61, v71
	v_sub_f32_e32 v60, v60, v70
	v_add_f32_e32 v70, v66, v68
	v_sub_f32_e32 v66, v68, v66
	v_add_f32_e32 v68, v72, v101
	v_fmac_f32_e32 v129, 0xbeae86e6, v52
	v_fmac_f32_e32 v105, 0x3ee1c552, v54
	;; [unrolled: 1-line block ×3, first 2 shown]
	v_sub_f32_e32 v61, v61, v71
	v_add_f32_e32 v71, v67, v69
	v_sub_f32_e32 v67, v69, v67
	v_add_f32_e32 v69, v73, v104
	v_add_f32_e32 v68, v70, v68
	;; [unrolled: 1-line block ×4, first 2 shown]
	v_fmac_f32_e32 v106, 0x3ee1c552, v55
	v_fmac_f32_e32 v129, 0x3ee1c552, v55
	v_sub_f32_e32 v65, v107, v105
	v_sub_f32_e32 v55, v11, v128
	v_add_f32_e32 v53, v128, v11
	v_add_f32_e32 v11, v105, v107
	v_sub_f32_e32 v105, v72, v101
	v_sub_f32_e32 v101, v101, v70
	;; [unrolled: 1-line block ×3, first 2 shown]
	v_add_f32_e32 v69, v71, v69
	v_add_f32_e32 v70, v68, v4
	;; [unrolled: 1-line block ×4, first 2 shown]
	v_sub_f32_e32 v52, v10, v129
	v_sub_f32_e32 v10, v116, v106
	;; [unrolled: 1-line block ×5, first 2 shown]
	v_add_f32_e32 v107, v66, v60
	v_add_f32_e32 v116, v67, v61
	v_sub_f32_e32 v128, v66, v60
	v_sub_f32_e32 v129, v67, v61
	v_add_f32_e32 v71, v69, v5
	v_mov_b32_e32 v130, v70
	v_sub_f32_e32 v66, v62, v66
	v_sub_f32_e32 v67, v63, v67
	;; [unrolled: 1-line block ×4, first 2 shown]
	v_add_f32_e32 v62, v107, v62
	v_add_f32_e32 v63, v116, v63
	v_mul_f32_e32 v4, 0x3f4a47b2, v101
	v_mul_f32_e32 v5, 0x3f4a47b2, v104
	;; [unrolled: 1-line block ×6, first 2 shown]
	v_fmac_f32_e32 v130, 0xbf955555, v68
	v_mov_b32_e32 v68, v71
	v_mul_f32_e32 v128, 0xbf5ff5aa, v60
	v_mul_f32_e32 v129, 0xbf5ff5aa, v61
	v_fmac_f32_e32 v68, 0xbf955555, v69
	v_fmamk_f32 v69, v72, 0x3d64c772, v4
	v_fmamk_f32 v72, v73, 0x3d64c772, v5
	v_fma_f32 v73, 0x3f3bfb3b, v105, -v101
	v_fma_f32 v101, 0x3f3bfb3b, v106, -v104
	;; [unrolled: 1-line block ×5, first 2 shown]
	v_fmamk_f32 v104, v66, 0x3eae86e6, v107
	v_fmac_f32_e32 v128, 0xbeae86e6, v66
	v_add_f32_e32 v61, v73, v130
	v_add_f32_e32 v101, v101, v68
	v_fmac_f32_e32 v106, 0x3ee1c552, v62
	v_fmac_f32_e32 v60, 0x3ee1c552, v63
	v_fma_f32 v4, 0xbf3bfb3b, v105, -v4
	v_fmamk_f32 v105, v67, 0x3eae86e6, v116
	v_fmac_f32_e32 v129, 0xbeae86e6, v67
	v_add_f32_e32 v107, v69, v130
	v_add_f32_e32 v116, v72, v68
	;; [unrolled: 1-line block ×3, first 2 shown]
	v_fmac_f32_e32 v104, 0x3ee1c552, v62
	v_fmac_f32_e32 v128, 0x3ee1c552, v62
	v_sub_f32_e32 v68, v61, v60
	v_add_f32_e32 v69, v106, v101
	v_add_f32_e32 v60, v60, v61
	v_sub_f32_e32 v61, v101, v106
	v_add_f32_e32 v101, v74, v84
	v_sub_f32_e32 v74, v74, v84
	v_add_f32_e32 v84, v78, v82
	v_fmac_f32_e32 v105, 0x3ee1c552, v63
	v_fmac_f32_e32 v129, 0x3ee1c552, v63
	v_sub_f32_e32 v73, v116, v104
	v_sub_f32_e32 v67, v5, v128
	v_add_f32_e32 v63, v128, v5
	v_add_f32_e32 v5, v104, v116
	v_add_f32_e32 v104, v75, v85
	v_sub_f32_e32 v75, v75, v85
	v_add_f32_e32 v85, v79, v83
	v_sub_f32_e32 v78, v78, v82
	v_add_f32_e32 v82, v76, v80
	;; [unrolled: 2-line block ×3, first 2 shown]
	v_add_f32_e32 v4, v4, v130
	v_sub_f32_e32 v79, v79, v83
	v_add_f32_e32 v83, v77, v81
	v_sub_f32_e32 v77, v81, v77
	v_add_f32_e32 v81, v85, v104
	v_add_f32_e32 v80, v82, v80
	;; [unrolled: 1-line block ×4, first 2 shown]
	v_sub_f32_e32 v62, v4, v129
	v_sub_f32_e32 v4, v107, v105
	;; [unrolled: 1-line block ×5, first 2 shown]
	v_add_f32_e32 v81, v83, v81
	v_add_f32_e32 v82, v80, v6
	v_sub_f32_e32 v106, v85, v104
	v_sub_f32_e32 v104, v104, v83
	;; [unrolled: 1-line block ×3, first 2 shown]
	v_add_f32_e32 v107, v76, v78
	v_sub_f32_e32 v128, v76, v78
	v_sub_f32_e32 v78, v78, v74
	v_add_f32_e32 v83, v81, v7
	v_mov_b32_e32 v130, v82
	v_add_f32_e32 v116, v77, v79
	v_sub_f32_e32 v129, v77, v79
	v_sub_f32_e32 v76, v74, v76
	;; [unrolled: 1-line block ×3, first 2 shown]
	v_add_f32_e32 v74, v107, v74
	v_mul_f32_e32 v6, 0x3f4a47b2, v101
	v_mul_f32_e32 v7, 0x3f4a47b2, v104
	;; [unrolled: 1-line block ×6, first 2 shown]
	v_fmac_f32_e32 v130, 0xbf955555, v80
	v_mov_b32_e32 v80, v83
	v_sub_f32_e32 v77, v75, v77
	v_add_f32_e32 v75, v116, v75
	v_mul_f32_e32 v116, 0xbf08b237, v129
	v_mul_f32_e32 v129, 0xbf5ff5aa, v79
	v_fmac_f32_e32 v80, 0xbf955555, v81
	v_fmamk_f32 v81, v84, 0x3d64c772, v6
	v_fmamk_f32 v84, v85, 0x3d64c772, v7
	v_fma_f32 v85, 0x3f3bfb3b, v105, -v101
	v_fma_f32 v101, 0x3f3bfb3b, v106, -v104
	;; [unrolled: 1-line block ×3, first 2 shown]
	v_fmamk_f32 v104, v76, 0x3eae86e6, v107
	v_fma_f32 v106, 0x3f5ff5aa, v78, -v107
	v_fmac_f32_e32 v128, 0xbeae86e6, v76
	v_fma_f32 v6, 0xbf3bfb3b, v105, -v6
	v_fmamk_f32 v105, v77, 0x3eae86e6, v116
	v_fma_f32 v107, 0x3f5ff5aa, v79, -v116
	v_fmac_f32_e32 v129, 0xbeae86e6, v77
	v_add_f32_e32 v131, v84, v80
	v_add_f32_e32 v77, v101, v80
	;; [unrolled: 1-line block ×3, first 2 shown]
	v_fmac_f32_e32 v104, 0x3ee1c552, v74
	v_fmac_f32_e32 v106, 0x3ee1c552, v74
	;; [unrolled: 1-line block ×3, first 2 shown]
	v_add_f32_e32 v101, v86, v96
	v_sub_f32_e32 v86, v86, v96
	v_add_f32_e32 v96, v88, v94
	v_add_f32_e32 v116, v81, v130
	;; [unrolled: 1-line block ×3, first 2 shown]
	v_fmac_f32_e32 v105, 0x3ee1c552, v75
	v_fmac_f32_e32 v107, 0x3ee1c552, v75
	;; [unrolled: 1-line block ×3, first 2 shown]
	v_sub_f32_e32 v85, v131, v104
	v_sub_f32_e32 v79, v7, v128
	v_add_f32_e32 v81, v106, v77
	v_sub_f32_e32 v75, v77, v106
	v_add_f32_e32 v77, v128, v7
	v_add_f32_e32 v7, v104, v131
	;; [unrolled: 1-line block ×3, first 2 shown]
	v_sub_f32_e32 v87, v87, v97
	v_add_f32_e32 v97, v89, v95
	v_sub_f32_e32 v88, v88, v94
	v_add_f32_e32 v94, v90, v92
	;; [unrolled: 2-line block ×3, first 2 shown]
	v_add_f32_e32 v6, v6, v130
	v_sub_f32_e32 v89, v89, v95
	v_add_f32_e32 v95, v91, v93
	v_sub_f32_e32 v91, v93, v91
	v_add_f32_e32 v93, v97, v104
	v_add_f32_e32 v92, v94, v92
	v_add_f32_e32 v84, v105, v116
	v_add_f32_e32 v78, v129, v6
	v_sub_f32_e32 v80, v76, v107
	v_add_f32_e32 v74, v107, v76
	v_sub_f32_e32 v76, v6, v129
	v_sub_f32_e32 v6, v116, v105
	;; [unrolled: 1-line block ×5, first 2 shown]
	v_add_f32_e32 v93, v95, v93
	v_add_f32_e32 v94, v92, v0
	v_sub_f32_e32 v106, v97, v104
	v_sub_f32_e32 v104, v104, v95
	;; [unrolled: 1-line block ×3, first 2 shown]
	v_add_f32_e32 v107, v90, v88
	v_sub_f32_e32 v128, v90, v88
	v_add_f32_e32 v95, v93, v1
	v_mov_b32_e32 v130, v94
	v_add_f32_e32 v116, v91, v89
	v_sub_f32_e32 v129, v91, v89
	v_sub_f32_e32 v90, v86, v90
	;; [unrolled: 1-line block ×4, first 2 shown]
	v_add_f32_e32 v86, v107, v86
	v_mul_f32_e32 v0, 0x3f4a47b2, v101
	v_mul_f32_e32 v1, 0x3f4a47b2, v104
	;; [unrolled: 1-line block ×5, first 2 shown]
	v_fmac_f32_e32 v130, 0xbf955555, v92
	v_mov_b32_e32 v92, v95
	v_sub_f32_e32 v91, v87, v91
	v_add_f32_e32 v87, v116, v87
	v_mul_f32_e32 v116, 0xbf08b237, v129
	v_mul_f32_e32 v128, 0xbf5ff5aa, v88
	;; [unrolled: 1-line block ×3, first 2 shown]
	v_fmac_f32_e32 v92, 0xbf955555, v93
	v_fmamk_f32 v93, v96, 0x3d64c772, v0
	v_fmamk_f32 v96, v97, 0x3d64c772, v1
	v_fma_f32 v97, 0x3f3bfb3b, v105, -v101
	v_fma_f32 v101, 0x3f3bfb3b, v106, -v104
	;; [unrolled: 1-line block ×5, first 2 shown]
	v_fmamk_f32 v104, v90, 0x3eae86e6, v107
	v_fmamk_f32 v105, v91, 0x3eae86e6, v116
	v_fma_f32 v89, 0x3f5ff5aa, v89, -v116
	v_fmac_f32_e32 v128, 0xbeae86e6, v90
	v_fmac_f32_e32 v129, 0xbeae86e6, v91
	v_add_f32_e32 v101, v101, v92
	v_fmac_f32_e32 v88, 0x3ee1c552, v86
	v_add_f32_e32 v106, v93, v130
	v_add_f32_e32 v107, v96, v92
	;; [unrolled: 1-line block ×4, first 2 shown]
	v_fmac_f32_e32 v104, 0x3ee1c552, v86
	v_fmac_f32_e32 v105, 0x3ee1c552, v87
	;; [unrolled: 1-line block ×5, first 2 shown]
	v_add_f32_e32 v93, v88, v101
	v_sub_f32_e32 v87, v101, v88
	v_mov_b32_e32 v101, 49
	v_sub_f32_e32 v97, v107, v104
	v_sub_f32_e32 v91, v1, v128
	;; [unrolled: 1-line block ×3, first 2 shown]
	v_add_f32_e32 v86, v89, v116
	v_add_f32_e32 v89, v128, v1
	;; [unrolled: 1-line block ×3, first 2 shown]
	v_mul_u32_u24_sdwa v104, v126, v101 dst_sel:DWORD dst_unused:UNUSED_PAD src0_sel:WORD_0 src1_sel:DWORD
	v_add_f32_e32 v0, v0, v130
	v_add_f32_e32 v96, v105, v106
	v_mov_b32_e32 v130, v133
	v_add_lshl_u32 v104, v104, v127, 3
	v_add_f32_e32 v90, v129, v0
	v_sub_f32_e32 v88, v0, v129
	v_sub_f32_e32 v0, v106, v105
	buffer_store_dword v104, off, s[16:19], 0 offset:668 ; 4-byte Folded Spill
	ds_write2_b64 v104, v[22:23], v[24:25] offset1:7
	ds_write2_b64 v104, v[18:19], v[20:21] offset0:14 offset1:21
	ds_write2_b64 v104, v[12:13], v[16:17] offset0:28 offset1:35
	ds_write_b64 v104, v[2:3] offset:336
	v_mul_u32_u24_sdwa v2, v124, v101 dst_sel:DWORD dst_unused:UNUSED_PAD src0_sel:WORD_0 src1_sel:DWORD
	v_add_lshl_u32 v2, v2, v125, 3
	ds_write2_b64 v2, v[34:35], v[40:41] offset1:7
	buffer_store_dword v2, off, s[16:19], 0 offset:676 ; 4-byte Folded Spill
	ds_write2_b64 v2, v[30:31], v[32:33] offset0:14 offset1:21
	ds_write2_b64 v2, v[26:27], v[28:29] offset0:28 offset1:35
	ds_write_b64 v2, v[14:15] offset:336
	v_mul_u32_u24_sdwa v2, v122, v101 dst_sel:DWORD dst_unused:UNUSED_PAD src0_sel:WORD_0 src1_sel:DWORD
	v_add_lshl_u32 v2, v2, v123, 3
	ds_write2_b64 v2, v[46:47], v[48:49] offset1:7
	buffer_store_dword v2, off, s[16:19], 0 offset:680 ; 4-byte Folded Spill
	;; [unrolled: 7-line block ×3, first 2 shown]
	ds_write2_b64 v2, v[54:55], v[56:57] offset0:14 offset1:21
	ds_write2_b64 v2, v[50:51], v[52:53] offset0:28 offset1:35
	ds_write_b64 v2, v[10:11] offset:336
	v_mul_u32_u24_sdwa v2, v113, v101 dst_sel:DWORD dst_unused:UNUSED_PAD src0_sel:WORD_0 src1_sel:DWORD
	v_mad_u64_u32 v[64:65], null, v132, 48, s[10:11]
	v_add_lshl_u32 v2, v2, v112, 3
	ds_write2_b64 v2, v[70:71], v[72:73] offset1:7
	buffer_store_dword v2, off, s[16:19], 0 offset:688 ; 4-byte Folded Spill
	ds_write2_b64 v2, v[66:67], v[68:69] offset0:14 offset1:21
	ds_write2_b64 v2, v[60:61], v[62:63] offset0:28 offset1:35
	ds_write_b64 v2, v[4:5] offset:336
	v_mad_u16 v2, v110, 49, v111
	v_lshlrev_b32_sdwa v2, v207, v2 dst_sel:DWORD dst_unused:UNUSED_PAD src0_sel:DWORD src1_sel:WORD_0
	ds_write2_b64 v2, v[82:83], v[84:85] offset1:7
	buffer_store_dword v2, off, s[16:19], 0 offset:664 ; 4-byte Folded Spill
	ds_write2_b64 v2, v[78:79], v[80:81] offset0:14 offset1:21
	ds_write2_b64 v2, v[74:75], v[76:77] offset0:28 offset1:35
	ds_write_b64 v2, v[6:7] offset:336
	v_mad_u16 v2, v98, 49, v99
	v_lshlrev_b32_sdwa v2, v207, v2 dst_sel:DWORD dst_unused:UNUSED_PAD src0_sel:DWORD src1_sel:WORD_0
	ds_write2_b64 v2, v[94:95], v[96:97] offset1:7
	buffer_store_dword v2, off, s[16:19], 0 offset:672 ; 4-byte Folded Spill
	ds_write2_b64 v2, v[90:91], v[92:93] offset0:14 offset1:21
	ds_write2_b64 v2, v[86:87], v[88:89] offset0:28 offset1:35
	ds_write_b64 v2, v[0:1] offset:336
	s_waitcnt lgkmcnt(0)
	s_waitcnt_vscnt null, 0x0
	s_barrier
	buffer_gl0_inv
	ds_read2_b64 v[12:15], v100 offset1:49
	ds_read2_b64 v[76:79], v133 offset0:38 offset1:87
	ds_read2_b64 v[69:72], v134 offset0:174 offset1:223
	;; [unrolled: 1-line block ×23, first 2 shown]
	ds_read_b64 v[66:67], v100 offset:18816
	s_clause 0x2
	global_load_dwordx4 v[131:134], v[64:65], off offset:368
	global_load_dwordx4 v[88:91], v[64:65], off offset:352
	;; [unrolled: 1-line block ×3, first 2 shown]
	s_waitcnt vmcnt(2) lgkmcnt(19)
	v_mul_f32_e32 v1, v22, v132
	s_waitcnt vmcnt(1)
	v_mul_f32_e32 v114, v30, v89
	s_waitcnt vmcnt(0)
	v_mul_f32_e32 v0, v79, v81
	v_mul_f32_e32 v2, v69, v83
	s_waitcnt lgkmcnt(17)
	v_mul_f32_e32 v5, v127, v81
	v_fmac_f32_e32 v1, v23, v131
	s_waitcnt lgkmcnt(16)
	v_mul_f32_e32 v251, v135, v89
	v_fma_f32 v113, v78, v80, -v0
	v_mul_f32_e32 v0, v70, v83
	v_fmac_f32_e32 v2, v70, v82
	v_fma_f32 v70, v126, v80, -v5
	v_mul_f32_e32 v5, v72, v83
	v_mul_f32_e32 v3, v104, v91
	v_fma_f32 v181, v69, v82, -v0
	v_mul_f32_e32 v0, v31, v89
	v_mul_f32_e32 v253, v71, v83
	;; [unrolled: 3-line block ×4, first 2 shown]
	v_fma_f32 v250, v135, v88, -v5
	v_mul_f32_e32 v5, v107, v91
	v_fmac_f32_e32 v3, v105, v90
	v_fma_f32 v115, v104, v90, -v0
	v_mul_f32_e32 v0, v23, v132
	v_fmac_f32_e32 v253, v72, v82
	v_fma_f32 v254, v106, v90, -v5
	s_waitcnt lgkmcnt(15)
	v_mul_f32_e32 v5, v61, v132
	v_fmac_f32_e32 v255, v107, v90
	v_fma_f32 v7, v22, v131, -v0
	v_mul_f32_e32 v22, v60, v132
	v_mul_f32_e32 v0, v123, v134
	v_fma_f32 v30, v60, v131, -v5
	v_mul_f32_e32 v5, v125, v134
	v_fmac_f32_e32 v112, v125, v133
	v_fmac_f32_e32 v22, v61, v131
	v_fma_f32 v6, v122, v133, -v0
	v_mul_f32_e32 v0, v122, v134
	v_fma_f32 v23, v124, v133, -v5
	v_mul_lo_u16 v5, 0x4f, v109
	v_fmac_f32_e32 v251, v136, v88
	v_fmac_f32_e32 v114, v31, v88
	;; [unrolled: 1-line block ×3, first 2 shown]
	v_mul_f32_e32 v31, v126, v81
	v_lshrrev_b16 v5, 8, v5
	v_mul_f32_e32 v4, v78, v81
	v_fmac_f32_e32 v31, v127, v80
	v_sub_nc_u16 v60, v108, v5
	v_fmac_f32_e32 v4, v79, v80
	v_lshrrev_b16 v60, 1, v60
	v_and_b32_e32 v60, 0x7f, v60
	v_add_nc_u16 v5, v60, v5
	v_lshrrev_b16 v5, 5, v5
	v_mul_lo_u16 v5, v5, 49
	v_sub_nc_u16 v5, v108, v5
	v_and_b32_e32 v135, 0xff, v5
	v_mad_u64_u32 v[60:61], null, v135, 48, s[10:11]
	s_clause 0x2
	global_load_dwordx4 v[71:74], v[60:61], off offset:368
	global_load_dwordx4 v[104:107], v[60:61], off offset:352
	;; [unrolled: 1-line block ×3, first 2 shown]
	s_waitcnt vmcnt(0)
	buffer_store_dword v122, off, s[16:19], 0 offset:812 ; 4-byte Folded Spill
	buffer_store_dword v123, off, s[16:19], 0 offset:816 ; 4-byte Folded Spill
	;; [unrolled: 1-line block ×12, first 2 shown]
	v_mul_f32_e32 v5, v129, v123
	v_mul_f32_e32 v243, v137, v105
	;; [unrolled: 1-line block ×3, first 2 shown]
	s_waitcnt lgkmcnt(11)
	v_mul_f32_e32 v249, v84, v74
	v_mul_f32_e32 v245, v92, v107
	v_fma_f32 v240, v128, v122, -v5
	v_mul_f32_e32 v5, v97, v125
	v_fmac_f32_e32 v243, v138, v104
	v_fmac_f32_e32 v247, v63, v71
	v_mul_f32_e32 v111, v96, v125
	v_fmac_f32_e32 v245, v93, v106
	v_fma_f32 v110, v96, v124, -v5
	v_mul_f32_e32 v5, v138, v105
	v_mul_f32_e32 v241, v128, v123
	v_fmac_f32_e32 v111, v97, v124
	v_fmac_f32_e32 v249, v85, v73
	v_fma_f32 v242, v137, v104, -v5
	v_mul_f32_e32 v5, v93, v107
	v_fmac_f32_e32 v241, v129, v122
	v_fma_f32 v244, v92, v106, -v5
	v_mul_f32_e32 v5, v63, v72
	v_fma_f32 v246, v62, v71, -v5
	v_mul_f32_e32 v5, v85, v74
	v_fma_f32 v248, v84, v73, -v5
	v_mul_lo_u16 v5, 0x4f, v120
	v_lshrrev_b16 v5, 8, v5
	v_sub_nc_u16 v60, v118, v5
	v_lshrrev_b16 v60, 1, v60
	v_and_b32_e32 v60, 0x7f, v60
	v_add_nc_u16 v5, v60, v5
	v_lshrrev_b16 v5, 5, v5
	v_mul_lo_u16 v5, v5, 49
	v_sub_nc_u16 v5, v118, v5
	v_and_b32_e32 v5, 0xff, v5
	v_mad_u64_u32 v[60:61], null, v5, 48, s[10:11]
	buffer_store_dword v5, off, s[16:19], 0 offset:408 ; 4-byte Folded Spill
	s_clause 0x2
	global_load_dwordx4 v[136:139], v[60:61], off offset:368
	global_load_dwordx4 v[144:147], v[60:61], off offset:352
	;; [unrolled: 1-line block ×3, first 2 shown]
	s_waitcnt vmcnt(2) lgkmcnt(8)
	v_mul_f32_e32 v187, v48, v137
	v_mul_f32_e32 v109, v86, v139
	s_waitcnt vmcnt(0)
	v_mul_f32_e32 v5, v57, v149
	v_mul_f32_e32 v105, v56, v149
	;; [unrolled: 1-line block ×3, first 2 shown]
	v_fmac_f32_e32 v187, v49, v136
	v_fmac_f32_e32 v109, v87, v138
	v_fma_f32 v104, v56, v148, -v5
	v_mul_f32_e32 v5, v99, v151
	v_fmac_f32_e32 v105, v57, v148
	v_mul_f32_e32 v106, v98, v151
	v_fmac_f32_e32 v107, v95, v146
	v_fma_f32 v57, v98, v150, -v5
	v_mul_f32_e32 v5, v53, v145
	v_fmac_f32_e32 v106, v99, v150
	v_fma_f32 v56, v52, v144, -v5
	v_mul_f32_e32 v52, v52, v145
	v_mul_f32_e32 v5, v95, v147
	v_fmac_f32_e32 v52, v53, v144
	v_fma_f32 v53, v94, v146, -v5
	v_mul_f32_e32 v5, v49, v137
	v_fma_f32 v127, v48, v136, -v5
	v_mul_f32_e32 v5, v87, v139
	v_fma_f32 v108, v86, v138, -v5
	v_mul_lo_u16 v5, 0x4f, v121
	v_lshrrev_b16 v5, 8, v5
	v_sub_nc_u16 v48, v119, v5
	v_lshrrev_b16 v48, 1, v48
	v_and_b32_e32 v48, 0x7f, v48
	v_add_nc_u16 v5, v48, v5
	v_lshrrev_b16 v5, 5, v5
	v_mul_lo_u16 v5, v5, 49
	v_sub_nc_u16 v5, v119, v5
	v_and_b32_e32 v5, 0xff, v5
	v_mad_u64_u32 v[48:49], null, v5, 48, s[10:11]
	buffer_store_dword v5, off, s[16:19], 0 offset:404 ; 4-byte Folded Spill
	s_clause 0x2
	global_load_dwordx4 v[160:163], v[48:49], off offset:368
	global_load_dwordx4 v[168:171], v[48:49], off offset:352
	;; [unrolled: 1-line block ×3, first 2 shown]
	s_waitcnt vmcnt(2) lgkmcnt(4)
	v_mul_f32_e32 v87, v36, v163
	s_waitcnt vmcnt(1)
	v_mul_f32_e32 v75, v40, v171
	s_waitcnt vmcnt(0)
	v_mul_f32_e32 v5, v59, v177
	v_mul_f32_e32 v61, v44, v179
	;; [unrolled: 1-line block ×3, first 2 shown]
	v_fmac_f32_e32 v87, v37, v162
	v_fmac_f32_e32 v75, v41, v170
	v_fma_f32 v62, v58, v176, -v5
	v_mul_f32_e32 v5, v45, v179
	v_fmac_f32_e32 v61, v45, v178
	v_mul_f32_e32 v73, v54, v169
	v_fmac_f32_e32 v85, v51, v160
	v_mul_f32_e32 v63, v58, v177
	v_fma_f32 v60, v44, v178, -v5
	v_mul_f32_e32 v5, v55, v169
	v_fmac_f32_e32 v73, v55, v168
	v_fmac_f32_e32 v63, v59, v176
	v_fma_f32 v72, v54, v168, -v5
	v_mul_f32_e32 v5, v41, v171
	v_fma_f32 v74, v40, v170, -v5
	v_mul_f32_e32 v5, v51, v161
	;; [unrolled: 2-line block ×3, first 2 shown]
	v_fma_f32 v86, v36, v162, -v5
	v_mov_b32_e32 v5, 0x4e5f
	v_mul_u32_u24_sdwa v36, v117, v5 dst_sel:DWORD dst_unused:UNUSED_PAD src0_sel:WORD_0 src1_sel:DWORD
	v_mul_u32_u24_sdwa v5, v180, v5 dst_sel:DWORD dst_unused:UNUSED_PAD src0_sel:WORD_0 src1_sel:DWORD
	v_lshrrev_b32_e32 v36, 16, v36
	v_lshrrev_b32_e32 v5, 16, v5
	v_sub_nc_u16 v37, v117, v36
	v_lshrrev_b16 v37, 1, v37
	v_add_nc_u16 v36, v37, v36
	v_lshrrev_b16 v36, 5, v36
	v_mul_lo_u16 v36, v36, 49
	v_sub_nc_u16 v101, v117, v36
	v_mul_lo_u16 v36, v101, 48
	v_and_b32_e32 v36, 0xffff, v36
	v_add_co_u32 v36, s2, s10, v36
	v_add_co_ci_u32_e64 v37, null, s11, 0, s2
	s_clause 0x2
	global_load_dwordx4 v[188:191], v[36:37], off offset:368
	global_load_dwordx4 v[192:195], v[36:37], off offset:352
	global_load_dwordx4 v[204:207], v[36:37], off offset:336
	s_waitcnt vmcnt(2) lgkmcnt(1)
	v_mul_f32_e32 v97, v16, v189
	s_waitcnt vmcnt(1)
	v_mul_f32_e32 v69, v24, v193
	s_waitcnt vmcnt(0)
	v_mul_f32_e32 v36, v33, v205
	v_mul_f32_e32 v71, v32, v205
	;; [unrolled: 1-line block ×3, first 2 shown]
	v_fmac_f32_e32 v97, v17, v188
	v_fmac_f32_e32 v69, v25, v192
	v_fma_f32 v116, v32, v204, -v36
	v_mul_f32_e32 v32, v47, v207
	v_fmac_f32_e32 v99, v39, v190
	v_fmac_f32_e32 v71, v33, v204
	v_mul_f32_e32 v93, v46, v207
	v_mul_f32_e32 v95, v42, v195
	v_fma_f32 v92, v46, v206, -v32
	v_mul_f32_e32 v32, v25, v193
	v_fmac_f32_e32 v93, v47, v206
	v_fmac_f32_e32 v95, v43, v194
	v_fma_f32 v118, v24, v192, -v32
	v_mul_f32_e32 v24, v43, v195
	v_fma_f32 v94, v42, v194, -v24
	v_mul_f32_e32 v24, v17, v189
	;; [unrolled: 2-line block ×3, first 2 shown]
	v_fma_f32 v98, v38, v190, -v16
	v_sub_nc_u16 v16, v180, v5
	v_lshrrev_b16 v16, 1, v16
	v_add_nc_u16 v5, v16, v5
	v_lshrrev_b16 v5, 5, v5
	v_mul_lo_u16 v5, v5, 49
	v_sub_nc_u16 v180, v180, v5
	v_mul_lo_u16 v5, v180, 48
	v_and_b32_e32 v5, 0xffff, v5
	v_add_co_u32 v16, s2, s10, v5
	v_add_co_ci_u32_e64 v17, null, s11, 0, s2
	s_clause 0x2
	global_load_dwordx4 v[36:39], v[16:17], off offset:368
	global_load_dwordx4 v[212:215], v[16:17], off offset:352
	;; [unrolled: 1-line block ×3, first 2 shown]
	s_waitcnt vmcnt(2)
	buffer_store_dword v36, off, s[16:19], 0 offset:960 ; 4-byte Folded Spill
	buffer_store_dword v37, off, s[16:19], 0 offset:964 ; 4-byte Folded Spill
	;; [unrolled: 1-line block ×4, first 2 shown]
	v_add_f32_e32 v16, v4, v0
	s_waitcnt vmcnt(0)
	v_mul_f32_e32 v5, v35, v217
	v_sub_f32_e32 v0, v4, v0
	v_add_f32_e32 v4, v181, v7
	v_mul_f32_e32 v123, v20, v215
	v_add_f32_e32 v17, v2, v1
	v_fma_f32 v128, v34, v216, -v5
	v_mul_f32_e32 v5, v29, v219
	v_sub_f32_e32 v1, v2, v1
	v_add_f32_e32 v2, v68, v115
	v_fmac_f32_e32 v123, v21, v214
	v_sub_f32_e32 v7, v181, v7
	v_fma_f32 v129, v28, v218, -v5
	v_mul_f32_e32 v5, v27, v213
	v_mul_f32_e32 v119, v28, v219
	;; [unrolled: 1-line block ×3, first 2 shown]
	v_sub_f32_e32 v25, v17, v16
	v_mul_f32_e32 v117, v34, v217
	v_fma_f32 v186, v26, v212, -v5
	v_mul_f32_e32 v5, v21, v215
	v_add_f32_e32 v21, v17, v16
	v_fmac_f32_e32 v119, v29, v218
	v_fmac_f32_e32 v121, v27, v212
	;; [unrolled: 1-line block ×3, first 2 shown]
	v_fma_f32 v122, v20, v214, -v5
	s_waitcnt lgkmcnt(0)
	s_waitcnt_vscnt null, 0x0
	s_barrier
	buffer_gl0_inv
	s_mov_b32 s2, 0x5cf97efd
	s_mov_b32 s3, 0x3f3b4b98
	v_mul_f32_e32 v5, v19, v37
	v_mul_f32_e32 v125, v18, v37
	v_mul_f32_e32 v126, v66, v39
	v_fma_f32 v124, v18, v36, -v5
	v_mul_f32_e32 v5, v67, v39
	v_fmac_f32_e32 v125, v19, v36
	v_add_f32_e32 v18, v114, v3
	v_sub_f32_e32 v19, v115, v68
	v_sub_f32_e32 v3, v3, v114
	v_fma_f32 v120, v66, v38, -v5
	v_add_f32_e32 v5, v113, v6
	v_sub_f32_e32 v6, v113, v6
	v_sub_f32_e32 v16, v16, v18
	;; [unrolled: 1-line block ×4, first 2 shown]
	v_add_f32_e32 v20, v4, v5
	v_sub_f32_e32 v24, v4, v5
	v_sub_f32_e32 v5, v5, v2
	;; [unrolled: 1-line block ×3, first 2 shown]
	v_add_f32_e32 v18, v18, v21
	v_add_f32_e32 v2, v2, v20
	;; [unrolled: 1-line block ×4, first 2 shown]
	v_sub_f32_e32 v29, v3, v1
	v_sub_f32_e32 v7, v7, v6
	v_add_f32_e32 v113, v2, v12
	v_sub_f32_e32 v1, v1, v0
	v_add_f32_e32 v114, v18, v13
	v_mul_f32_e32 v20, 0xbf08b237, v28
	v_sub_f32_e32 v19, v6, v19
	v_mov_b32_e32 v28, v113
	v_sub_f32_e32 v3, v0, v3
	v_add_f32_e32 v6, v26, v6
	v_add_f32_e32 v0, v27, v0
	v_mul_f32_e32 v5, 0x3f4a47b2, v5
	v_mul_f32_e32 v12, 0x3f4a47b2, v16
	;; [unrolled: 1-line block ×7, first 2 shown]
	v_fmac_f32_e32 v28, 0xbf955555, v2
	v_mov_b32_e32 v2, v114
	v_fmamk_f32 v4, v4, 0x3d64c772, v5
	v_fmamk_f32 v17, v17, 0x3d64c772, v12
	v_fma_f32 v13, 0x3f3bfb3b, v24, -v13
	v_fma_f32 v16, 0x3f3bfb3b, v25, -v16
	v_fmac_f32_e32 v2, 0xbf955555, v18
	v_fma_f32 v12, 0xbf3bfb3b, v25, -v12
	v_fmamk_f32 v29, v19, 0x3eae86e6, v20
	v_fmamk_f32 v32, v3, 0x3eae86e6, v21
	v_fma_f32 v7, 0x3f5ff5aa, v7, -v20
	v_fma_f32 v1, 0x3f5ff5aa, v1, -v21
	v_fmac_f32_e32 v26, 0xbeae86e6, v19
	v_fmac_f32_e32 v27, 0xbeae86e6, v3
	v_fma_f32 v5, 0xbf3bfb3b, v24, -v5
	v_add_f32_e32 v3, v4, v28
	v_add_f32_e32 v4, v17, v2
	;; [unrolled: 1-line block ×5, first 2 shown]
	v_fmac_f32_e32 v29, 0x3ee1c552, v6
	v_fmac_f32_e32 v32, 0x3ee1c552, v0
	;; [unrolled: 1-line block ×6, first 2 shown]
	v_add_f32_e32 v0, v70, v23
	v_add_f32_e32 v6, v252, v30
	;; [unrolled: 1-line block ×4, first 2 shown]
	v_sub_f32_e32 v25, v4, v29
	v_sub_f32_e32 v19, v2, v26
	;; [unrolled: 1-line block ×3, first 2 shown]
	v_add_f32_e32 v21, v7, v16
	v_add_f32_e32 v12, v1, v13
	v_sub_f32_e32 v13, v16, v7
	v_add_f32_e32 v17, v26, v2
	v_sub_f32_e32 v2, v3, v32
	v_add_f32_e32 v3, v29, v4
	v_add_f32_e32 v1, v31, v112
	v_sub_f32_e32 v4, v70, v23
	v_add_f32_e32 v7, v253, v22
	v_sub_f32_e32 v23, v252, v30
	v_add_f32_e32 v26, v250, v254
	v_add_f32_e32 v30, v6, v0
	;; [unrolled: 1-line block ×3, first 2 shown]
	v_sub_f32_e32 v16, v5, v27
	v_sub_f32_e32 v5, v31, v112
	v_sub_f32_e32 v22, v253, v22
	v_add_f32_e32 v27, v251, v255
	v_sub_f32_e32 v28, v254, v250
	v_sub_f32_e32 v29, v255, v251
	v_add_f32_e32 v31, v7, v1
	v_sub_f32_e32 v32, v6, v0
	v_sub_f32_e32 v0, v0, v26
	;; [unrolled: 1-line block ×3, first 2 shown]
	v_add_f32_e32 v26, v26, v30
	v_sub_f32_e32 v33, v7, v1
	v_sub_f32_e32 v1, v1, v27
	;; [unrolled: 1-line block ×3, first 2 shown]
	v_add_f32_e32 v34, v28, v23
	v_add_f32_e32 v35, v29, v22
	v_sub_f32_e32 v37, v29, v22
	v_sub_f32_e32 v22, v22, v5
	v_add_f32_e32 v27, v27, v31
	v_add_f32_e32 v46, v26, v14
	v_sub_f32_e32 v36, v28, v23
	v_sub_f32_e32 v28, v4, v28
	;; [unrolled: 1-line block ×4, first 2 shown]
	v_add_f32_e32 v4, v34, v4
	v_add_f32_e32 v47, v27, v15
	v_mul_f32_e32 v0, 0x3f4a47b2, v0
	v_mul_f32_e32 v14, 0x3d64c772, v6
	;; [unrolled: 1-line block ×4, first 2 shown]
	v_mov_b32_e32 v34, v46
	v_fmac_f32_e32 v126, v67, v38
	v_add_f32_e32 v5, v35, v5
	v_mul_f32_e32 v1, 0x3f4a47b2, v1
	v_mul_f32_e32 v15, 0x3d64c772, v7
	v_mul_f32_e32 v30, 0xbf08b237, v36
	v_mul_f32_e32 v36, 0xbf5ff5aa, v23
	v_fmac_f32_e32 v34, 0xbf955555, v26
	v_mov_b32_e32 v26, v47
	v_fmamk_f32 v6, v6, 0x3d64c772, v0
	v_fma_f32 v14, 0x3f3bfb3b, v32, -v14
	v_fma_f32 v0, 0xbf3bfb3b, v32, -v0
	v_fmamk_f32 v38, v29, 0x3eae86e6, v31
	v_fma_f32 v22, 0x3f5ff5aa, v22, -v31
	v_fmac_f32_e32 v37, 0xbeae86e6, v29
	v_fmac_f32_e32 v26, 0xbf955555, v27
	v_fmamk_f32 v7, v7, 0x3d64c772, v1
	v_fma_f32 v15, 0x3f3bfb3b, v33, -v15
	v_fma_f32 v1, 0xbf3bfb3b, v33, -v1
	v_fmamk_f32 v27, v28, 0x3eae86e6, v30
	v_fma_f32 v23, 0x3f5ff5aa, v23, -v30
	v_fmac_f32_e32 v36, 0xbeae86e6, v28
	v_add_f32_e32 v6, v6, v34
	v_add_f32_e32 v14, v14, v34
	;; [unrolled: 1-line block ×3, first 2 shown]
	v_fmac_f32_e32 v38, 0x3ee1c552, v5
	v_fmac_f32_e32 v22, 0x3ee1c552, v5
	;; [unrolled: 1-line block ×3, first 2 shown]
	v_add_f32_e32 v7, v7, v26
	v_add_f32_e32 v15, v15, v26
	;; [unrolled: 1-line block ×3, first 2 shown]
	v_fmac_f32_e32 v27, 0x3ee1c552, v4
	v_fmac_f32_e32 v23, 0x3ee1c552, v4
	;; [unrolled: 1-line block ×3, first 2 shown]
	v_add_f32_e32 v32, v38, v6
	v_add_f32_e32 v34, v37, v0
	v_sub_f32_e32 v28, v14, v22
	v_add_f32_e32 v30, v22, v14
	v_sub_f32_e32 v14, v0, v37
	v_sub_f32_e32 v26, v6, v38
	v_add_f32_e32 v0, v240, v248
	v_add_f32_e32 v6, v110, v246
	v_sub_f32_e32 v33, v7, v27
	v_sub_f32_e32 v35, v1, v36
	v_add_f32_e32 v29, v23, v15
	v_sub_f32_e32 v31, v15, v23
	v_add_f32_e32 v15, v36, v1
	v_add_f32_e32 v27, v27, v7
	;; [unrolled: 1-line block ×4, first 2 shown]
	v_sub_f32_e32 v22, v110, v246
	v_add_f32_e32 v36, v242, v244
	v_sub_f32_e32 v38, v244, v242
	v_add_f32_e32 v40, v6, v0
	v_sub_f32_e32 v4, v240, v248
	v_sub_f32_e32 v5, v241, v249
	;; [unrolled: 1-line block ×3, first 2 shown]
	v_add_f32_e32 v37, v243, v245
	v_sub_f32_e32 v39, v245, v243
	v_add_f32_e32 v41, v7, v1
	v_sub_f32_e32 v42, v6, v0
	v_sub_f32_e32 v0, v0, v36
	;; [unrolled: 1-line block ×3, first 2 shown]
	v_add_f32_e32 v44, v38, v22
	v_add_f32_e32 v36, v36, v40
	v_sub_f32_e32 v43, v7, v1
	v_sub_f32_e32 v1, v1, v37
	;; [unrolled: 1-line block ×3, first 2 shown]
	v_add_f32_e32 v45, v39, v23
	v_sub_f32_e32 v48, v38, v22
	v_sub_f32_e32 v49, v39, v23
	;; [unrolled: 1-line block ×5, first 2 shown]
	v_add_f32_e32 v37, v37, v41
	v_add_f32_e32 v4, v44, v4
	;; [unrolled: 1-line block ×3, first 2 shown]
	v_sub_f32_e32 v39, v5, v39
	v_add_f32_e32 v5, v45, v5
	v_add_f32_e32 v45, v37, v9
	v_mul_f32_e32 v0, 0x3f4a47b2, v0
	v_mul_f32_e32 v40, 0xbf08b237, v48
	;; [unrolled: 1-line block ×4, first 2 shown]
	v_mov_b32_e32 v48, v44
	v_mul_f32_e32 v1, 0x3f4a47b2, v1
	v_mul_f32_e32 v8, 0x3d64c772, v6
	;; [unrolled: 1-line block ×4, first 2 shown]
	v_fmac_f32_e32 v48, 0xbf955555, v36
	v_mov_b32_e32 v36, v45
	v_fmamk_f32 v6, v6, 0x3d64c772, v0
	v_fma_f32 v0, 0xbf3bfb3b, v42, -v0
	v_fmamk_f32 v55, v39, 0x3eae86e6, v41
	v_fmac_f32_e32 v51, 0xbeae86e6, v39
	v_fmac_f32_e32 v36, 0xbf955555, v37
	v_fmamk_f32 v7, v7, 0x3d64c772, v1
	v_fma_f32 v8, 0x3f3bfb3b, v42, -v8
	v_fma_f32 v9, 0x3f3bfb3b, v43, -v9
	;; [unrolled: 1-line block ×3, first 2 shown]
	v_fmamk_f32 v54, v38, 0x3eae86e6, v40
	v_fma_f32 v22, 0x3f5ff5aa, v22, -v40
	v_fmac_f32_e32 v50, 0xbeae86e6, v38
	v_add_f32_e32 v6, v6, v48
	v_add_f32_e32 v0, v0, v48
	v_fmac_f32_e32 v55, 0x3ee1c552, v5
	v_fmac_f32_e32 v51, 0x3ee1c552, v5
	v_fma_f32 v23, 0x3f5ff5aa, v23, -v41
	v_add_f32_e32 v7, v7, v36
	v_add_f32_e32 v8, v8, v48
	;; [unrolled: 1-line block ×4, first 2 shown]
	v_fmac_f32_e32 v54, 0x3ee1c552, v4
	v_fmac_f32_e32 v22, 0x3ee1c552, v4
	;; [unrolled: 1-line block ×3, first 2 shown]
	v_add_f32_e32 v48, v55, v6
	v_add_f32_e32 v40, v51, v0
	v_sub_f32_e32 v36, v0, v51
	v_sub_f32_e32 v38, v6, v55
	v_add_f32_e32 v0, v104, v108
	v_add_f32_e32 v6, v57, v127
	v_fmac_f32_e32 v23, 0x3ee1c552, v5
	v_sub_f32_e32 v49, v7, v54
	v_sub_f32_e32 v41, v1, v50
	v_add_f32_e32 v43, v22, v9
	v_sub_f32_e32 v9, v9, v22
	v_add_f32_e32 v37, v50, v1
	v_add_f32_e32 v39, v54, v7
	;; [unrolled: 1-line block ×4, first 2 shown]
	v_sub_f32_e32 v22, v57, v127
	v_add_f32_e32 v50, v56, v53
	v_sub_f32_e32 v53, v53, v56
	v_add_f32_e32 v54, v6, v0
	;; [unrolled: 2-line block ×3, first 2 shown]
	v_sub_f32_e32 v4, v104, v108
	v_sub_f32_e32 v5, v105, v109
	;; [unrolled: 1-line block ×3, first 2 shown]
	v_add_f32_e32 v51, v52, v107
	v_sub_f32_e32 v52, v107, v52
	v_add_f32_e32 v55, v7, v1
	v_sub_f32_e32 v56, v6, v0
	v_sub_f32_e32 v0, v0, v50
	;; [unrolled: 1-line block ×3, first 2 shown]
	v_add_f32_e32 v58, v53, v22
	v_add_f32_e32 v50, v50, v54
	v_sub_f32_e32 v57, v7, v1
	v_sub_f32_e32 v1, v1, v51
	;; [unrolled: 1-line block ×3, first 2 shown]
	v_add_f32_e32 v59, v52, v23
	v_sub_f32_e32 v66, v53, v22
	v_sub_f32_e32 v67, v52, v23
	;; [unrolled: 1-line block ×5, first 2 shown]
	v_add_f32_e32 v51, v51, v55
	v_add_f32_e32 v4, v58, v4
	;; [unrolled: 1-line block ×3, first 2 shown]
	v_sub_f32_e32 v52, v5, v52
	v_add_f32_e32 v5, v59, v5
	v_add_f32_e32 v59, v51, v11
	v_mul_f32_e32 v0, 0x3f4a47b2, v0
	v_mul_f32_e32 v54, 0xbf08b237, v66
	v_mul_f32_e32 v55, 0xbf08b237, v67
	v_mul_f32_e32 v70, 0xbf5ff5aa, v23
	v_mov_b32_e32 v66, v58
	v_mul_f32_e32 v1, 0x3f4a47b2, v1
	v_mul_f32_e32 v10, 0x3d64c772, v6
	;; [unrolled: 1-line block ×4, first 2 shown]
	v_fmac_f32_e32 v66, 0xbf955555, v50
	v_mov_b32_e32 v50, v59
	v_fmamk_f32 v6, v6, 0x3d64c772, v0
	v_fma_f32 v0, 0xbf3bfb3b, v56, -v0
	v_fmamk_f32 v79, v52, 0x3eae86e6, v55
	v_fmac_f32_e32 v70, 0xbeae86e6, v52
	v_fmac_f32_e32 v50, 0xbf955555, v51
	v_fmamk_f32 v7, v7, 0x3d64c772, v1
	v_fma_f32 v10, 0x3f3bfb3b, v56, -v10
	v_fma_f32 v11, 0x3f3bfb3b, v57, -v11
	;; [unrolled: 1-line block ×3, first 2 shown]
	v_fmamk_f32 v78, v53, 0x3eae86e6, v54
	v_fma_f32 v22, 0x3f5ff5aa, v22, -v54
	v_fmac_f32_e32 v68, 0xbeae86e6, v53
	v_add_f32_e32 v6, v6, v66
	v_add_f32_e32 v0, v0, v66
	v_fmac_f32_e32 v79, 0x3ee1c552, v5
	v_fmac_f32_e32 v70, 0x3ee1c552, v5
	v_fma_f32 v23, 0x3f5ff5aa, v23, -v55
	v_add_f32_e32 v7, v7, v50
	v_add_f32_e32 v10, v10, v66
	;; [unrolled: 1-line block ×4, first 2 shown]
	v_fmac_f32_e32 v78, 0x3ee1c552, v4
	v_fmac_f32_e32 v22, 0x3ee1c552, v4
	;; [unrolled: 1-line block ×3, first 2 shown]
	v_add_f32_e32 v66, v79, v6
	v_add_f32_e32 v54, v70, v0
	v_sub_f32_e32 v50, v0, v70
	v_sub_f32_e32 v52, v6, v79
	v_add_f32_e32 v0, v62, v86
	v_add_f32_e32 v6, v60, v84
	v_fmac_f32_e32 v23, 0x3ee1c552, v5
	v_sub_f32_e32 v67, v7, v78
	v_sub_f32_e32 v55, v1, v68
	v_add_f32_e32 v57, v22, v11
	v_sub_f32_e32 v11, v11, v22
	v_add_f32_e32 v51, v68, v1
	v_add_f32_e32 v53, v78, v7
	;; [unrolled: 1-line block ×4, first 2 shown]
	v_sub_f32_e32 v22, v60, v84
	v_add_f32_e32 v60, v72, v74
	v_add_f32_e32 v68, v6, v0
	v_sub_f32_e32 v56, v10, v23
	v_add_f32_e32 v10, v23, v10
	v_sub_f32_e32 v4, v62, v86
	v_sub_f32_e32 v23, v61, v85
	v_add_f32_e32 v61, v73, v75
	v_sub_f32_e32 v62, v74, v72
	v_add_f32_e32 v70, v7, v1
	v_sub_f32_e32 v72, v6, v0
	v_sub_f32_e32 v0, v0, v60
	;; [unrolled: 1-line block ×3, first 2 shown]
	v_add_f32_e32 v60, v60, v68
	v_sub_f32_e32 v5, v63, v87
	v_sub_f32_e32 v63, v75, v73
	;; [unrolled: 1-line block ×5, first 2 shown]
	v_add_f32_e32 v61, v61, v70
	v_add_f32_e32 v84, v60, v182
	;; [unrolled: 1-line block ×4, first 2 shown]
	v_sub_f32_e32 v78, v62, v22
	v_sub_f32_e32 v79, v63, v23
	v_sub_f32_e32 v23, v23, v5
	v_add_f32_e32 v85, v61, v183
	v_mov_b32_e32 v86, v84
	v_sub_f32_e32 v62, v4, v62
	v_sub_f32_e32 v63, v5, v63
	;; [unrolled: 1-line block ×3, first 2 shown]
	v_add_f32_e32 v4, v74, v4
	v_add_f32_e32 v5, v75, v5
	v_mul_f32_e32 v0, 0x3f4a47b2, v0
	v_mul_f32_e32 v68, 0x3d64c772, v6
	v_mul_f32_e32 v70, 0x3d64c772, v7
	v_mul_f32_e32 v74, 0xbf08b237, v78
	v_mul_f32_e32 v75, 0xbf08b237, v79
	v_mul_f32_e32 v79, 0xbf5ff5aa, v23
	v_fmac_f32_e32 v86, 0xbf955555, v60
	v_mov_b32_e32 v60, v85
	v_mul_f32_e32 v1, 0x3f4a47b2, v1
	v_mul_f32_e32 v78, 0xbf5ff5aa, v22
	v_fmamk_f32 v6, v6, 0x3d64c772, v0
	v_fma_f32 v0, 0xbf3bfb3b, v72, -v0
	v_fmac_f32_e32 v60, 0xbf955555, v61
	v_fma_f32 v61, 0x3f3bfb3b, v72, -v68
	v_fma_f32 v68, 0x3f3bfb3b, v73, -v70
	v_fmamk_f32 v106, v63, 0x3eae86e6, v75
	v_fma_f32 v22, 0x3f5ff5aa, v22, -v74
	v_fmac_f32_e32 v79, 0xbeae86e6, v63
	v_fmamk_f32 v7, v7, 0x3d64c772, v1
	v_fma_f32 v1, 0xbf3bfb3b, v73, -v1
	v_fmamk_f32 v70, v62, 0x3eae86e6, v74
	v_fma_f32 v23, 0x3f5ff5aa, v23, -v75
	v_fmac_f32_e32 v78, 0xbeae86e6, v62
	v_add_f32_e32 v6, v6, v86
	v_add_f32_e32 v62, v68, v60
	;; [unrolled: 1-line block ×3, first 2 shown]
	v_fmac_f32_e32 v106, 0x3ee1c552, v5
	v_fmac_f32_e32 v22, 0x3ee1c552, v4
	;; [unrolled: 1-line block ×3, first 2 shown]
	v_add_f32_e32 v7, v7, v60
	v_add_f32_e32 v61, v61, v86
	;; [unrolled: 1-line block ×3, first 2 shown]
	v_fmac_f32_e32 v70, 0x3ee1c552, v4
	v_fmac_f32_e32 v23, 0x3ee1c552, v5
	;; [unrolled: 1-line block ×3, first 2 shown]
	v_add_f32_e32 v86, v106, v6
	v_add_f32_e32 v72, v79, v0
	;; [unrolled: 1-line block ×3, first 2 shown]
	v_sub_f32_e32 v105, v62, v22
	v_sub_f32_e32 v60, v0, v79
	v_sub_f32_e32 v62, v6, v106
	v_add_f32_e32 v0, v116, v98
	v_add_f32_e32 v6, v92, v96
	v_sub_f32_e32 v87, v7, v70
	v_sub_f32_e32 v73, v1, v78
	;; [unrolled: 1-line block ×3, first 2 shown]
	v_add_f32_e32 v104, v23, v61
	v_add_f32_e32 v61, v78, v1
	;; [unrolled: 1-line block ×7, first 2 shown]
	v_sub_f32_e32 v5, v71, v99
	v_sub_f32_e32 v22, v92, v96
	v_add_f32_e32 v70, v69, v95
	v_sub_f32_e32 v71, v94, v118
	v_add_f32_e32 v79, v7, v1
	v_sub_f32_e32 v92, v6, v0
	v_sub_f32_e32 v0, v0, v68
	;; [unrolled: 1-line block ×3, first 2 shown]
	v_add_f32_e32 v68, v68, v78
	v_sub_f32_e32 v4, v116, v98
	v_sub_f32_e32 v23, v93, v97
	v_sub_f32_e32 v69, v95, v69
	v_sub_f32_e32 v93, v7, v1
	v_sub_f32_e32 v1, v1, v70
	v_sub_f32_e32 v7, v70, v7
	v_add_f32_e32 v94, v71, v22
	v_sub_f32_e32 v98, v71, v22
	v_add_f32_e32 v70, v70, v79
	v_add_f32_e32 v96, v68, v184
	;; [unrolled: 1-line block ×3, first 2 shown]
	v_sub_f32_e32 v99, v69, v23
	v_sub_f32_e32 v71, v4, v71
	;; [unrolled: 1-line block ×4, first 2 shown]
	v_add_f32_e32 v4, v94, v4
	v_add_f32_e32 v97, v70, v185
	v_mul_f32_e32 v94, 0xbf08b237, v98
	v_mov_b32_e32 v98, v96
	v_sub_f32_e32 v69, v5, v69
	v_mul_f32_e32 v0, 0x3f4a47b2, v0
	v_mul_f32_e32 v1, 0x3f4a47b2, v1
	v_mul_f32_e32 v78, 0x3d64c772, v6
	v_mul_f32_e32 v79, 0x3d64c772, v7
	v_mul_f32_e32 v107, 0xbf5ff5aa, v23
	v_fmac_f32_e32 v98, 0xbf955555, v68
	v_mov_b32_e32 v68, v97
	v_add_f32_e32 v5, v95, v5
	v_mul_f32_e32 v95, 0xbf08b237, v99
	v_mul_f32_e32 v106, 0xbf5ff5aa, v22
	v_fmamk_f32 v6, v6, 0x3d64c772, v0
	v_fmac_f32_e32 v68, 0xbf955555, v70
	v_fmamk_f32 v7, v7, 0x3d64c772, v1
	v_fma_f32 v70, 0x3f3bfb3b, v92, -v78
	v_fma_f32 v78, 0x3f3bfb3b, v93, -v79
	;; [unrolled: 1-line block ×4, first 2 shown]
	v_fmac_f32_e32 v107, 0xbeae86e6, v69
	v_fma_f32 v1, 0xbf3bfb3b, v93, -v1
	v_fmamk_f32 v108, v69, 0x3eae86e6, v95
	v_fma_f32 v23, 0x3f5ff5aa, v23, -v95
	v_fmac_f32_e32 v106, 0xbeae86e6, v71
	v_add_f32_e32 v95, v7, v68
	v_add_f32_e32 v7, v78, v68
	;; [unrolled: 1-line block ×3, first 2 shown]
	v_fmac_f32_e32 v22, 0x3ee1c552, v4
	v_fmac_f32_e32 v107, 0x3ee1c552, v5
	v_fmamk_f32 v79, v71, 0x3eae86e6, v94
	v_add_f32_e32 v94, v6, v98
	v_add_f32_e32 v6, v70, v98
	;; [unrolled: 1-line block ×3, first 2 shown]
	v_fmac_f32_e32 v23, 0x3ee1c552, v5
	v_fmac_f32_e32 v106, 0x3ee1c552, v4
	v_add_f32_e32 v68, v107, v0
	v_add_f32_e32 v71, v22, v7
	v_sub_f32_e32 v7, v7, v22
	v_sub_f32_e32 v92, v0, v107
	v_add_f32_e32 v0, v128, v120
	v_add_f32_e32 v22, v129, v124
	v_fmac_f32_e32 v108, 0x3ee1c552, v5
	v_sub_f32_e32 v69, v1, v106
	v_sub_f32_e32 v70, v6, v23
	v_add_f32_e32 v6, v23, v6
	v_add_f32_e32 v93, v106, v1
	v_add_f32_e32 v1, v117, v126
	v_add_f32_e32 v23, v119, v125
	v_add_f32_e32 v106, v186, v122
	v_add_f32_e32 v110, v22, v0
	v_fmac_f32_e32 v79, 0x3ee1c552, v4
	v_add_f32_e32 v98, v108, v94
	v_sub_f32_e32 v94, v94, v108
	v_sub_f32_e32 v78, v129, v124
	v_add_f32_e32 v107, v121, v123
	v_sub_f32_e32 v108, v122, v186
	v_add_f32_e32 v111, v23, v1
	v_sub_f32_e32 v112, v22, v0
	v_sub_f32_e32 v0, v0, v106
	;; [unrolled: 1-line block ×3, first 2 shown]
	v_add_f32_e32 v106, v106, v110
	v_sub_f32_e32 v99, v95, v79
	v_add_f32_e32 v95, v79, v95
	v_sub_f32_e32 v4, v128, v120
	v_sub_f32_e32 v79, v119, v125
	v_sub_f32_e32 v109, v123, v121
	v_sub_f32_e32 v115, v23, v1
	v_sub_f32_e32 v1, v1, v107
	v_sub_f32_e32 v23, v107, v23
	v_add_f32_e32 v116, v108, v78
	v_add_f32_e32 v107, v107, v111
	v_add_f32_e32 v124, v106, v76
	v_sub_f32_e32 v118, v108, v78
	v_sub_f32_e32 v119, v109, v79
	;; [unrolled: 1-line block ×4, first 2 shown]
	v_add_f32_e32 v4, v116, v4
	v_add_f32_e32 v125, v107, v77
	v_mov_b32_e32 v116, v124
	v_mul_f32_e32 v110, 0xbf08b237, v118
	v_mul_f32_e32 v111, 0xbf08b237, v119
	;; [unrolled: 1-line block ×3, first 2 shown]
	ds_write2_b64 v100, v[113:114], v[24:25] offset1:49
	ds_write2_b64 v100, v[18:19], v[20:21] offset0:98 offset1:147
	ds_write2_b64 v100, v[12:13], v[16:17] offset0:196 offset1:245
	;; [unrolled: 1-line block ×4, first 2 shown]
	v_fmac_f32_e32 v116, 0xbf955555, v106
	v_mov_b32_e32 v106, v125
	v_fma_f32 v78, 0x3f5ff5aa, v78, -v110
	v_fmac_f32_e32 v119, 0xbeae86e6, v108
	v_lshlrev_b32_e32 v3, 3, v135
	v_add_nc_u32_e32 v2, 0xc00, v100
	v_fmac_f32_e32 v106, 0xbf955555, v107
	v_fmamk_f32 v107, v108, 0x3eae86e6, v110
	v_fmac_f32_e32 v78, 0x3ee1c552, v4
	v_fmac_f32_e32 v119, 0x3ee1c552, v4
	v_add_nc_u32_e32 v12, 0x1000, v100
	ds_write2_b64 v2, v[28:29], v[30:31] offset0:106 offset1:155
	v_fmac_f32_e32 v107, 0x3ee1c552, v4
	v_add_nc_u32_e32 v4, 0x1000, v3
	v_sub_f32_e32 v5, v117, v126
	ds_write2_b64 v12, v[14:15], v[26:27] offset0:76 offset1:125
	buffer_store_dword v4, off, s[16:19], 0 offset:488 ; 4-byte Folded Spill
	buffer_store_dword v3, off, s[16:19], 0 offset:492 ; 4-byte Folded Spill
	ds_write2_b64 v4, v[44:45], v[48:49] offset0:174 offset1:223
	v_add_nc_u32_e32 v4, 0x1800, v3
	v_add_f32_e32 v117, v109, v79
	v_sub_f32_e32 v79, v79, v5
	v_sub_f32_e32 v109, v5, v109
	v_mul_f32_e32 v0, 0x3f4a47b2, v0
	ds_write2_b64 v4, v[40:41], v[42:43] offset0:16 offset1:65
	buffer_store_dword v4, off, s[16:19], 0 offset:496 ; 4-byte Folded Spill
	ds_write2_b64 v4, v[8:9], v[36:37] offset0:114 offset1:163
	ds_write_b64 v3, v[38:39] offset:7840
	buffer_load_dword v3, off, s[16:19], 0 offset:408 ; 4-byte Folded Reload
	v_mul_f32_e32 v76, 0x3d64c772, v22
	v_mul_f32_e32 v118, 0xbf5ff5aa, v79
	v_add_f32_e32 v5, v117, v5
	v_fmamk_f32 v22, v22, 0x3d64c772, v0
	v_fma_f32 v0, 0xbf3bfb3b, v112, -v0
	v_fma_f32 v76, 0x3f3bfb3b, v112, -v76
	v_fmamk_f32 v112, v109, 0x3eae86e6, v111
	v_fma_f32 v79, 0x3f5ff5aa, v79, -v111
	v_fmac_f32_e32 v118, 0xbeae86e6, v109
	v_mul_f32_e32 v1, 0x3f4a47b2, v1
	v_mul_f32_e32 v77, 0x3d64c772, v23
	v_fmac_f32_e32 v112, 0x3ee1c552, v5
	v_fmac_f32_e32 v79, 0x3ee1c552, v5
	;; [unrolled: 1-line block ×3, first 2 shown]
	v_mov_b32_e32 v5, 3
	v_fmamk_f32 v23, v23, 0x3d64c772, v1
	v_fma_f32 v77, 0x3f3bfb3b, v115, -v77
	v_fma_f32 v1, 0xbf3bfb3b, v115, -v1
	v_add_f32_e32 v22, v22, v116
	v_add_f32_e32 v76, v76, v116
	;; [unrolled: 1-line block ×7, first 2 shown]
	v_sub_f32_e32 v127, v23, v107
	v_sub_f32_e32 v122, v76, v79
	v_add_f32_e32 v120, v118, v0
	v_sub_f32_e32 v121, v1, v119
	v_add_f32_e32 v123, v78, v77
	v_add_f32_e32 v116, v79, v76
	v_sub_f32_e32 v117, v77, v78
	v_sub_f32_e32 v118, v0, v118
	v_add_f32_e32 v119, v119, v1
	v_sub_f32_e32 v0, v22, v112
	v_add_f32_e32 v1, v107, v23
	s_waitcnt vmcnt(0)
	v_lshlrev_b32_e32 v3, 3, v3
	v_add_nc_u32_e32 v4, 0x2000, v3
	buffer_store_dword v3, off, s[16:19], 0 offset:484 ; 4-byte Folded Spill
	ds_write2_b64 v4, v[58:59], v[66:67] offset0:5 offset1:54
	buffer_store_dword v4, off, s[16:19], 0 offset:500 ; 4-byte Folded Spill
	ds_write2_b64 v4, v[54:55], v[56:57] offset0:103 offset1:152
	ds_write2_b64 v4, v[10:11], v[50:51] offset0:201 offset1:250
	ds_write_b64 v3, v[52:53] offset:10584
	buffer_load_dword v3, off, s[16:19], 0 offset:404 ; 4-byte Folded Reload
	s_waitcnt vmcnt(0)
	v_lshlrev_b32_e32 v3, 3, v3
	v_add_nc_u32_e32 v4, 0x2800, v3
	buffer_store_dword v3, off, s[16:19], 0 offset:404 ; 4-byte Folded Spill
	ds_write2_b64 v4, v[84:85], v[86:87] offset0:92 offset1:141
	buffer_store_dword v4, off, s[16:19], 0 offset:420 ; 4-byte Folded Spill
	ds_write2_b64 v4, v[72:73], v[74:75] offset0:190 offset1:239
	v_add_nc_u32_e32 v4, 0x3000, v3
	buffer_store_dword v4, off, s[16:19], 0 offset:408 ; 4-byte Folded Spill
	ds_write2_b64 v4, v[104:105], v[60:61] offset0:32 offset1:81
	ds_write_b64 v3, v[62:63] offset:13328
	v_lshlrev_b32_sdwa v3, v5, v101 dst_sel:DWORD dst_unused:UNUSED_PAD src0_sel:DWORD src1_sel:WORD_0
	v_add_nc_u32_e32 v4, 0x3000, v3
	buffer_store_dword v4, off, s[16:19], 0 offset:412 ; 4-byte Folded Spill
	buffer_store_dword v3, off, s[16:19], 0 offset:416 ; 4-byte Folded Spill
	ds_write2_b64 v4, v[96:97], v[98:99] offset0:179 offset1:228
	v_add_nc_u32_e32 v4, 0x3800, v3
	ds_write2_b64 v4, v[68:69], v[70:71] offset0:21 offset1:70
	buffer_store_dword v4, off, s[16:19], 0 offset:424 ; 4-byte Folded Spill
	ds_write2_b64 v4, v[6:7], v[92:93] offset0:119 offset1:168
	ds_write_b64 v3, v[94:95] offset:16072
	v_lshlrev_b32_sdwa v3, v5, v180 dst_sel:DWORD dst_unused:UNUSED_PAD src0_sel:DWORD src1_sel:WORD_0
	v_add_nc_u32_e32 v6, 0x4000, v100
	v_add_nc_u32_e32 v5, 0x3400, v100
	;; [unrolled: 1-line block ×3, first 2 shown]
	buffer_store_dword v3, off, s[16:19], 0 offset:428 ; 4-byte Folded Spill
	ds_write2_b64 v4, v[124:125], v[126:127] offset0:10 offset1:59
	buffer_store_dword v4, off, s[16:19], 0 offset:432 ; 4-byte Folded Spill
	ds_write2_b64 v4, v[120:121], v[122:123] offset0:108 offset1:157
	ds_write2_b64 v4, v[116:117], v[118:119] offset0:206 offset1:255
	ds_write_b64 v3, v[0:1] offset:18816
	v_add_nc_u32_e32 v0, 0x1c00, v100
	s_waitcnt lgkmcnt(0)
	s_waitcnt_vscnt null, 0x0
	s_barrier
	buffer_gl0_inv
	ds_read2_b64 v[84:87], v100 offset1:49
	ds_read2_b64 v[240:243], v130 offset0:38 offset1:87
	ds_read2_b64 v[66:69], v12 offset0:174 offset1:223
	;; [unrolled: 1-line block ×3, first 2 shown]
	v_add_nc_u32_e32 v4, 0x2800, v100
	v_add_nc_u32_e32 v0, 0x3000, v100
	;; [unrolled: 1-line block ×3, first 2 shown]
	ds_read2_b64 v[70:73], v4 offset0:92 offset1:141
	ds_read2_b64 v[8:11], v0 offset0:130 offset1:179
	;; [unrolled: 1-line block ×7, first 2 shown]
	v_add_nc_u32_e32 v5, 0x1800, v100
	ds_read2_b64 v[56:59], v5 offset0:16 offset1:65
	ds_read2_b64 v[52:55], v4 offset0:190 offset1:239
	;; [unrolled: 1-line block ×5, first 2 shown]
	v_add_nc_u32_e32 v1, 0x3800, v100
	ds_read2_b64 v[36:39], v1 offset0:70 offset1:119
	ds_read2_b64 v[244:247], v100 offset0:196 offset1:245
	;; [unrolled: 1-line block ×6, first 2 shown]
	v_add_nc_u32_e32 v0, 0x2400, v100
	ds_read2_b64 v[12:15], v0 offset0:122 offset1:171
	ds_read2_b64 v[4:7], v1 offset0:168 offset1:217
	ds_read_b64 v[60:61], v100 offset:18816
	v_add_co_u32 v0, vcc_lo, 0xa80, v64
	v_add_co_ci_u32_e32 v1, vcc_lo, 0, v65, vcc_lo
	v_add_co_u32 v2, vcc_lo, 0x800, v64
	v_add_co_ci_u32_e32 v3, vcc_lo, 0, v65, vcc_lo
	global_load_dwordx4 v[62:65], v[2:3], off offset:640
	s_waitcnt vmcnt(0)
	buffer_store_dword v62, off, s[16:19], 0 offset:468 ; 4-byte Folded Spill
	buffer_store_dword v63, off, s[16:19], 0 offset:472 ; 4-byte Folded Spill
	buffer_store_dword v64, off, s[16:19], 0 offset:476 ; 4-byte Folded Spill
	buffer_store_dword v65, off, s[16:19], 0 offset:480 ; 4-byte Folded Spill
	global_load_dwordx4 v[92:95], v[0:1], off offset:32
	s_waitcnt vmcnt(0)
	buffer_store_dword v92, off, s[16:19], 0 offset:436 ; 4-byte Folded Spill
	buffer_store_dword v93, off, s[16:19], 0 offset:440 ; 4-byte Folded Spill
	buffer_store_dword v94, off, s[16:19], 0 offset:444 ; 4-byte Folded Spill
	buffer_store_dword v95, off, s[16:19], 0 offset:448 ; 4-byte Folded Spill
	;; [unrolled: 6-line block ×3, first 2 shown]
	s_waitcnt lgkmcnt(23)
	v_mul_f32_e32 v0, v243, v63
	s_waitcnt lgkmcnt(19)
	v_mul_f32_e32 v117, v10, v93
	v_mul_f32_e32 v1, v67, v65
	;; [unrolled: 1-line block ×3, first 2 shown]
	s_waitcnt lgkmcnt(18)
	v_mul_f32_e32 v119, v74, v95
	v_fma_f32 v99, v242, v62, -v0
	v_mul_f32_e32 v0, v242, v63
	v_fmac_f32_e32 v117, v11, v92
	v_fma_f32 v114, v66, v64, -v1
	v_fmac_f32_e32 v115, v67, v64
	v_fmac_f32_e32 v119, v75, v94
	;; [unrolled: 1-line block ×3, first 2 shown]
	v_mul_f32_e32 v2, v71, v111
	v_mul_f32_e32 v1, v19, v109
	v_mul_f32_e32 v113, v70, v111
	v_fma_f32 v112, v70, v110, -v2
	v_mul_f32_e32 v2, v11, v93
	v_fma_f32 v64, v18, v108, -v1
	v_mul_f32_e32 v1, v18, v109
	v_fmac_f32_e32 v113, v71, v110
	v_fma_f32 v62, v10, v92, -v2
	v_mul_f32_e32 v2, v75, v95
	v_fmac_f32_e32 v1, v19, v108
	v_fma_f32 v118, v74, v94, -v2
	buffer_load_dword v2, off, s[16:19], 0 offset:504 ; 4-byte Folded Reload
	s_waitcnt vmcnt(0)
	v_mad_u64_u32 v[10:11], null, v2, 48, s[10:11]
	v_add_co_u32 v2, vcc_lo, 0xa80, v10
	v_add_co_ci_u32_e32 v3, vcc_lo, 0, v11, vcc_lo
	v_add_co_u32 v18, vcc_lo, 0x800, v10
	v_add_co_ci_u32_e32 v19, vcc_lo, 0, v11, vcc_lo
	s_clause 0x2
	global_load_dwordx4 v[92:95], v[18:19], off offset:640
	global_load_dwordx4 v[180:183], v[2:3], off offset:32
	;; [unrolled: 1-line block ×3, first 2 shown]
	v_add_co_u32 v18, vcc_lo, 0x13b0, v10
	v_add_co_ci_u32_e32 v19, vcc_lo, 0, v11, vcc_lo
	s_waitcnt vmcnt(2)
	v_mov_b32_e32 v97, v95
	v_mov_b32_e32 v96, v94
	;; [unrolled: 1-line block ×4, first 2 shown]
	s_waitcnt vmcnt(1) lgkmcnt(15)
	v_mul_f32_e32 v3, v124, v181
	v_mul_f32_e32 v2, v105, v95
	;; [unrolled: 1-line block ×3, first 2 shown]
	v_fmac_f32_e32 v3, v125, v180
	v_fma_f32 v92, v104, v94, -v2
	v_mul_f32_e32 v2, v69, v97
	v_fmac_f32_e32 v93, v105, v94
	v_fma_f32 v104, v68, v96, -v2
	buffer_store_dword v94, off, s[16:19], 0 offset:504 ; 4-byte Folded Spill
	buffer_store_dword v95, off, s[16:19], 0 offset:508 ; 4-byte Folded Spill
	;; [unrolled: 1-line block ×4, first 2 shown]
	s_waitcnt vmcnt(0)
	v_mul_f32_e32 v2, v121, v109
	v_mul_f32_e32 v105, v68, v97
	v_mov_b32_e32 v65, v108
	v_mov_b32_e32 v68, v111
	v_mul_f32_e32 v97, v120, v109
	v_mov_b32_e32 v66, v109
	v_fmac_f32_e32 v105, v69, v96
	v_fma_f32 v96, v120, v108, -v2
	v_mov_b32_e32 v67, v110
	v_mul_f32_e32 v2, v73, v68
	v_fmac_f32_e32 v97, v121, v108
	v_add_co_u32 v69, vcc_lo, 0x1000, v10
	v_add_co_ci_u32_e32 v70, vcc_lo, 0, v11, vcc_lo
	v_fma_f32 v108, v72, v67, -v2
	buffer_store_dword v65, off, s[16:19], 0 offset:520 ; 4-byte Folded Spill
	buffer_store_dword v66, off, s[16:19], 0 offset:524 ; 4-byte Folded Spill
	;; [unrolled: 1-line block ×4, first 2 shown]
	v_mul_f32_e32 v2, v125, v181
	v_mul_f32_e32 v109, v72, v68
	v_fma_f32 v68, v124, v180, -v2
	v_mul_f32_e32 v2, v77, v183
	v_fmac_f32_e32 v109, v73, v67
	v_fma_f32 v66, v76, v182, -v2
	buffer_store_dword v180, off, s[16:19], 0 offset:536 ; 4-byte Folded Spill
	buffer_store_dword v181, off, s[16:19], 0 offset:540 ; 4-byte Folded Spill
	buffer_store_dword v182, off, s[16:19], 0 offset:544 ; 4-byte Folded Spill
	buffer_store_dword v183, off, s[16:19], 0 offset:548 ; 4-byte Folded Spill
	v_mul_f32_e32 v2, v76, v183
	v_fmac_f32_e32 v2, v77, v182
	global_load_dwordx4 v[180:183], v[69:70], off offset:944
	s_waitcnt vmcnt(0)
	buffer_store_dword v180, off, s[16:19], 0 offset:568 ; 4-byte Folded Spill
	buffer_store_dword v181, off, s[16:19], 0 offset:572 ; 4-byte Folded Spill
	;; [unrolled: 1-line block ×4, first 2 shown]
	s_clause 0x1
	global_load_dwordx4 v[71:74], v[18:19], off offset:32
	global_load_dwordx4 v[75:78], v[18:19], off offset:16
	s_waitcnt vmcnt(0)
	buffer_store_dword v75, off, s[16:19], 0 offset:552 ; 4-byte Folded Spill
	buffer_store_dword v76, off, s[16:19], 0 offset:556 ; 4-byte Folded Spill
	buffer_store_dword v77, off, s[16:19], 0 offset:560 ; 4-byte Folded Spill
	buffer_store_dword v78, off, s[16:19], 0 offset:564 ; 4-byte Folded Spill
	buffer_store_dword v71, off, s[16:19], 0 offset:584 ; 4-byte Folded Spill
	buffer_store_dword v72, off, s[16:19], 0 offset:588 ; 4-byte Folded Spill
	buffer_store_dword v73, off, s[16:19], 0 offset:592 ; 4-byte Folded Spill
	buffer_store_dword v74, off, s[16:19], 0 offset:596 ; 4-byte Folded Spill
	v_mul_f32_e32 v18, v107, v181
	s_waitcnt lgkmcnt(13)
	v_mul_f32_e32 v254, v56, v183
	v_mul_f32_e32 v101, v106, v181
	v_fma_f32 v70, v106, v180, -v18
	v_mul_f32_e32 v18, v57, v183
	v_fmac_f32_e32 v101, v107, v180
	v_fmac_f32_e32 v254, v57, v182
	v_fma_f32 v111, v56, v182, -v18
	v_mul_f32_e32 v18, v123, v76
	v_mul_f32_e32 v19, v126, v72
	;; [unrolled: 1-line block ×3, first 2 shown]
	v_fma_f32 v56, v122, v75, -v18
	s_waitcnt lgkmcnt(12)
	v_mul_f32_e32 v18, v53, v78
	v_fmac_f32_e32 v19, v127, v71
	v_fmac_f32_e32 v63, v123, v75
	v_fma_f32 v110, v52, v77, -v18
	v_mul_f32_e32 v52, v52, v78
	v_mul_f32_e32 v18, v127, v72
	v_fmac_f32_e32 v52, v53, v77
	v_fma_f32 v53, v126, v71, -v18
	s_waitcnt lgkmcnt(11)
	v_mul_f32_e32 v18, v49, v74
	v_fma_f32 v94, v48, v73, -v18
	v_mul_f32_e32 v18, v48, v74
	v_add_co_u32 v48, vcc_lo, 0x1ce0, v10
	v_fmac_f32_e32 v18, v49, v73
	v_add_co_ci_u32_e32 v49, vcc_lo, 0, v11, vcc_lo
	v_add_co_u32 v71, vcc_lo, 0x1800, v10
	v_add_co_ci_u32_e32 v72, vcc_lo, 0, v11, vcc_lo
	s_clause 0x2
	global_load_dwordx4 v[120:123], v[71:72], off offset:1248
	global_load_dwordx4 v[73:76], v[48:49], off offset:32
	;; [unrolled: 1-line block ×3, first 2 shown]
	s_waitcnt vmcnt(2) lgkmcnt(10)
	v_mul_f32_e32 v48, v45, v121
	s_waitcnt vmcnt(0) lgkmcnt(9)
	v_mul_f32_e32 v106, v40, v125
	v_fma_f32 v72, v44, v120, -v48
	v_mul_f32_e32 v48, v44, v121
	v_fmac_f32_e32 v106, v41, v124
	v_fmac_f32_e32 v48, v45, v120
	buffer_store_dword v120, off, s[16:19], 0 offset:648 ; 4-byte Folded Spill
	buffer_store_dword v121, off, s[16:19], 0 offset:652 ; 4-byte Folded Spill
	;; [unrolled: 1-line block ×4, first 2 shown]
	v_mul_f32_e32 v45, v41, v125
	v_mul_f32_e32 v44, v59, v123
	v_fma_f32 v107, v58, v122, -v44
	v_mul_f32_e32 v44, v58, v123
	v_fma_f32 v58, v40, v124, -v45
	v_mul_f32_e32 v40, v55, v127
	v_fmac_f32_e32 v44, v59, v122
	v_fma_f32 v49, v54, v126, -v40
	s_waitcnt lgkmcnt(8)
	v_mul_f32_e32 v40, v37, v74
	buffer_store_dword v124, off, s[16:19], 0 offset:696 ; 4-byte Folded Spill
	buffer_store_dword v125, off, s[16:19], 0 offset:700 ; 4-byte Folded Spill
	buffer_store_dword v126, off, s[16:19], 0 offset:704 ; 4-byte Folded Spill
	buffer_store_dword v127, off, s[16:19], 0 offset:708 ; 4-byte Folded Spill
	v_fma_f32 v45, v36, v73, -v40
	v_mul_f32_e32 v40, v36, v74
	v_mul_f32_e32 v36, v51, v76
	v_fmac_f32_e32 v40, v37, v73
	v_fma_f32 v252, v50, v75, -v36
	buffer_store_dword v73, off, s[16:19], 0 offset:712 ; 4-byte Folded Spill
	buffer_store_dword v74, off, s[16:19], 0 offset:716 ; 4-byte Folded Spill
	;; [unrolled: 1-line block ×4, first 2 shown]
	v_mul_f32_e32 v41, v54, v127
	v_fmac_f32_e32 v41, v55, v126
	v_mul_f32_e32 v36, v50, v76
	v_add_co_u32 v50, vcc_lo, 0x2610, v10
	v_fmac_f32_e32 v36, v51, v75
	v_add_co_ci_u32_e32 v51, vcc_lo, 0, v11, vcc_lo
	v_add_co_u32 v54, vcc_lo, 0x2000, v10
	v_add_co_ci_u32_e32 v55, vcc_lo, 0, v11, vcc_lo
	global_load_dwordx4 v[124:127], v[54:55], off offset:1552
	s_waitcnt vmcnt(0)
	buffer_store_dword v124, off, s[16:19], 0 offset:728 ; 4-byte Folded Spill
	buffer_store_dword v125, off, s[16:19], 0 offset:732 ; 4-byte Folded Spill
	;; [unrolled: 1-line block ×4, first 2 shown]
	s_clause 0x1
	global_load_dwordx4 v[76:79], v[50:51], off offset:32
	global_load_dwordx4 v[120:123], v[50:51], off offset:16
	s_waitcnt vmcnt(0)
	buffer_store_dword v120, off, s[16:19], 0 offset:744 ; 4-byte Folded Spill
	buffer_store_dword v121, off, s[16:19], 0 offset:748 ; 4-byte Folded Spill
	;; [unrolled: 1-line block ×8, first 2 shown]
	v_mul_f32_e32 v37, v47, v125
	s_waitcnt lgkmcnt(6)
	v_mul_f32_e32 v73, v32, v127
	v_mul_f32_e32 v75, v46, v125
	v_fma_f32 v74, v46, v124, -v37
	v_mul_f32_e32 v37, v33, v127
	v_fmac_f32_e32 v73, v33, v126
	v_fmac_f32_e32 v75, v47, v124
	v_fma_f32 v37, v32, v126, -v37
	v_mul_f32_e32 v32, v43, v121
	s_waitcnt lgkmcnt(5)
	v_mul_f32_e32 v69, v28, v123
	v_mul_f32_e32 v65, v42, v121
	;; [unrolled: 1-line block ×3, first 2 shown]
	v_fma_f32 v54, v42, v120, -v32
	v_mul_f32_e32 v32, v29, v123
	v_fmac_f32_e32 v65, v43, v120
	v_fmac_f32_e32 v69, v29, v122
	;; [unrolled: 1-line block ×3, first 2 shown]
	v_fma_f32 v50, v28, v122, -v32
	v_mul_f32_e32 v28, v39, v77
	v_fma_f32 v242, v38, v76, -v28
	s_waitcnt lgkmcnt(4)
	v_mul_f32_e32 v28, v25, v79
	v_fma_f32 v253, v24, v78, -v28
	v_mul_f32_e32 v28, v24, v79
	v_add_co_u32 v24, vcc_lo, 0x2f40, v10
	v_fmac_f32_e32 v28, v25, v78
	v_add_co_ci_u32_e32 v25, vcc_lo, 0, v11, vcc_lo
	v_add_co_u32 v32, vcc_lo, 0x2800, v10
	v_add_co_ci_u32_e32 v33, vcc_lo, 0, v11, vcc_lo
	s_clause 0x2
	global_load_dwordx4 v[120:123], v[32:33], off offset:1856
	global_load_dwordx4 v[76:79], v[24:25], off offset:32
	;; [unrolled: 1-line block ×3, first 2 shown]
	s_waitcnt vmcnt(2) lgkmcnt(3)
	v_mul_f32_e32 v24, v21, v121
	v_mul_f32_e32 v51, v20, v121
	s_waitcnt vmcnt(0) lgkmcnt(2)
	v_mul_f32_e32 v55, v12, v125
	s_waitcnt lgkmcnt(1)
	v_mul_f32_e32 v67, v4, v77
	v_mul_f32_e32 v59, v30, v127
	v_fma_f32 v128, v20, v120, -v24
	v_mul_f32_e32 v20, v35, v123
	v_fmac_f32_e32 v55, v13, v124
	v_fmac_f32_e32 v67, v5, v76
	;; [unrolled: 1-line block ×4, first 2 shown]
	v_fma_f32 v130, v34, v122, -v20
	v_mul_f32_e32 v20, v13, v125
	v_mul_f32_e32 v57, v34, v123
	v_fma_f32 v135, v12, v124, -v20
	v_mul_f32_e32 v12, v31, v127
	v_fmac_f32_e32 v57, v35, v122
	v_fma_f32 v129, v30, v126, -v12
	v_mul_f32_e32 v12, v5, v77
	v_fma_f32 v116, v4, v76, -v12
	v_add_co_u32 v12, vcc_lo, 0x3870, v10
	v_add_co_ci_u32_e32 v13, vcc_lo, 0, v11, vcc_lo
	v_add_co_u32 v10, vcc_lo, 0x3800, v10
	v_mul_f32_e32 v4, v27, v79
	v_add_co_ci_u32_e32 v11, vcc_lo, 0, v11, vcc_lo
	v_fma_f32 v29, v26, v78, -v4
	buffer_store_dword v76, off, s[16:19], 0 offset:928 ; 4-byte Folded Spill
	buffer_store_dword v77, off, s[16:19], 0 offset:932 ; 4-byte Folded Spill
	;; [unrolled: 1-line block ×4, first 2 shown]
	s_clause 0x2
	global_load_dwordx4 v[184:187], v[10:11], off offset:112
	global_load_dwordx4 v[30:33], v[12:13], off offset:32
	;; [unrolled: 1-line block ×3, first 2 shown]
	v_add_f32_e32 v10, v115, v117
	v_sub_f32_e32 v11, v114, v62
	v_add_f32_e32 v13, v64, v112
	v_sub_f32_e32 v12, v115, v117
	v_mul_f32_e32 v4, v26, v79
	s_waitcnt vmcnt(2)
	v_mul_f32_e32 v5, v23, v185
	v_mul_f32_e32 v26, v16, v187
	s_waitcnt vmcnt(0)
	v_mul_f32_e32 v255, v8, v183
	v_fmac_f32_e32 v4, v27, v78
	v_mul_f32_e32 v95, v14, v181
	v_fma_f32 v78, v22, v184, -v5
	v_mul_f32_e32 v5, v17, v187
	v_fmac_f32_e32 v255, v9, v182
	v_mul_f32_e32 v71, v22, v185
	v_fmac_f32_e32 v95, v15, v180
	v_fmac_f32_e32 v26, v17, v186
	v_fma_f32 v79, v16, v186, -v5
	v_mul_f32_e32 v5, v15, v181
	v_sub_f32_e32 v15, v112, v64
	v_fmac_f32_e32 v71, v23, v184
	v_fma_f32 v5, v14, v180, -v5
	v_add_f32_e32 v14, v1, v113
	v_sub_f32_e32 v24, v15, v11
	v_sub_f32_e32 v1, v113, v1
	buffer_store_dword v5, off, s[16:19], 0 offset:984 ; 4-byte Folded Spill
	v_mul_f32_e32 v5, v9, v183
	v_add_f32_e32 v9, v114, v62
	v_add_f32_e32 v23, v1, v12
	v_sub_f32_e32 v25, v1, v12
	v_mul_f32_e32 v24, 0xbf08b237, v24
	v_fma_f32 v5, v8, v182, -v5
	v_sub_f32_e32 v8, v99, v118
	v_sub_f32_e32 v22, v13, v9
	v_mul_f32_e32 v25, 0xbf08b237, v25
	buffer_store_dword v5, off, s[16:19], 0 offset:988 ; 4-byte Folded Spill
	buffer_store_dword v30, off, s[16:19], 0 offset:944 ; 4-byte Folded Spill
	;; [unrolled: 1-line block ×5, first 2 shown]
	v_mul_f32_e32 v5, v7, v31
	s_waitcnt lgkmcnt(0)
	v_mul_f32_e32 v98, v60, v33
	v_fma_f32 v5, v6, v30, -v5
	v_fmac_f32_e32 v98, v61, v32
	buffer_store_dword v5, off, s[16:19], 0 offset:992 ; 4-byte Folded Spill
	v_mul_f32_e32 v5, v6, v31
	v_mul_f32_e32 v6, v61, v33
	v_fmac_f32_e32 v5, v7, v30
	v_fma_f32 v27, v60, v32, -v6
	v_add_f32_e32 v6, v99, v118
	v_add_f32_e32 v7, v0, v119
	v_sub_f32_e32 v0, v0, v119
	v_add_nc_u32_e32 v119, 0x800, v100
	v_add_nc_u32_e32 v118, 0x3800, v100
	v_add_f32_e32 v16, v9, v6
	v_add_f32_e32 v17, v10, v7
	v_sub_f32_e32 v20, v9, v6
	v_sub_f32_e32 v6, v6, v13
	v_add_f32_e32 v9, v15, v11
	v_add_f32_e32 v13, v13, v16
	v_sub_f32_e32 v21, v10, v7
	v_sub_f32_e32 v7, v7, v14
	;; [unrolled: 1-line block ×5, first 2 shown]
	v_add_f32_e32 v14, v14, v17
	v_add_f32_e32 v16, v9, v8
	;; [unrolled: 1-line block ×3, first 2 shown]
	v_sub_f32_e32 v12, v12, v0
	v_mul_f32_e32 v7, 0x3f4a47b2, v7
	v_add_f32_e32 v9, v14, v85
	v_mul_f32_e32 v30, 0xbf5ff5aa, v11
	v_mov_b32_e32 v32, v8
	v_sub_f32_e32 v1, v0, v1
	v_add_f32_e32 v0, v23, v0
	v_mul_f32_e32 v6, 0x3f4a47b2, v6
	v_mul_f32_e32 v23, 0x3d64c772, v10
	v_fmac_f32_e32 v32, 0xbf955555, v13
	v_mov_b32_e32 v13, v9
	v_mul_f32_e32 v31, 0xbf5ff5aa, v12
	v_fmamk_f32 v10, v10, 0x3d64c772, v7
	v_fma_f32 v7, 0xbf3bfb3b, v21, -v7
	v_fmac_f32_e32 v30, 0xbeae86e6, v15
	v_fmac_f32_e32 v13, 0xbf955555, v14
	v_mul_f32_e32 v17, 0x3d64c772, v22
	v_fmamk_f32 v14, v22, 0x3d64c772, v6
	v_fma_f32 v22, 0x3f3bfb3b, v21, -v23
	v_fmamk_f32 v23, v15, 0x3eae86e6, v24
	v_fmamk_f32 v33, v1, 0x3eae86e6, v25
	v_fma_f32 v11, 0x3f5ff5aa, v11, -v24
	v_fma_f32 v24, 0x3f5ff5aa, v12, -v25
	v_fmac_f32_e32 v31, 0xbeae86e6, v1
	v_add_f32_e32 v7, v7, v13
	v_fmac_f32_e32 v30, 0x3ee1c552, v16
	v_fma_f32 v6, 0xbf3bfb3b, v20, -v6
	v_add_f32_e32 v1, v14, v32
	v_add_f32_e32 v10, v10, v13
	;; [unrolled: 1-line block ×3, first 2 shown]
	v_fmac_f32_e32 v23, 0x3ee1c552, v16
	v_fmac_f32_e32 v33, 0x3ee1c552, v0
	;; [unrolled: 1-line block ×4, first 2 shown]
	v_sub_f32_e32 v13, v7, v30
	v_add_f32_e32 v85, v30, v7
	v_add_f32_e32 v0, v92, v66
	;; [unrolled: 1-line block ×3, first 2 shown]
	v_fma_f32 v17, 0x3f3bfb3b, v20, -v17
	v_add_f32_e32 v6, v6, v32
	v_add_f32_e32 v20, v33, v1
	v_sub_f32_e32 v21, v10, v23
	v_sub_f32_e32 v112, v1, v33
	v_add_f32_e32 v113, v23, v10
	v_add_f32_e32 v1, v93, v2
	;; [unrolled: 1-line block ×6, first 2 shown]
	v_fmac_f32_e32 v11, 0x3ee1c552, v16
	v_add_f32_e32 v12, v31, v6
	v_sub_f32_e32 v84, v6, v31
	v_sub_f32_e32 v2, v93, v2
	;; [unrolled: 1-line block ×3, first 2 shown]
	v_add_f32_e32 v23, v97, v109
	v_sub_f32_e32 v25, v109, v97
	v_add_f32_e32 v31, v10, v1
	v_sub_f32_e32 v32, v7, v0
	v_sub_f32_e32 v0, v0, v22
	;; [unrolled: 1-line block ×3, first 2 shown]
	v_add_f32_e32 v22, v22, v30
	v_sub_f32_e32 v16, v14, v24
	v_add_f32_e32 v17, v11, v15
	v_add_f32_e32 v14, v24, v14
	v_sub_f32_e32 v15, v15, v11
	v_sub_f32_e32 v6, v92, v66
	;; [unrolled: 1-line block ×7, first 2 shown]
	v_add_f32_e32 v35, v25, v3
	v_sub_f32_e32 v39, v25, v3
	v_sub_f32_e32 v3, v3, v2
	v_add_f32_e32 v23, v23, v31
	v_add_f32_e32 v46, v22, v86
	;; [unrolled: 1-line block ×3, first 2 shown]
	v_sub_f32_e32 v38, v24, v11
	v_sub_f32_e32 v25, v2, v25
	;; [unrolled: 1-line block ×3, first 2 shown]
	v_add_f32_e32 v2, v35, v2
	v_add_f32_e32 v47, v23, v87
	v_mul_f32_e32 v0, 0x3f4a47b2, v0
	v_mul_f32_e32 v35, 0xbf08b237, v39
	;; [unrolled: 1-line block ×3, first 2 shown]
	v_mov_b32_e32 v42, v46
	v_sub_f32_e32 v24, v6, v24
	v_add_f32_e32 v6, v34, v6
	v_mul_f32_e32 v1, 0x3f4a47b2, v1
	v_mul_f32_e32 v30, 0x3d64c772, v7
	;; [unrolled: 1-line block ×5, first 2 shown]
	v_fmac_f32_e32 v42, 0xbf955555, v22
	v_mov_b32_e32 v22, v47
	v_fmamk_f32 v7, v7, 0x3d64c772, v0
	v_fma_f32 v0, 0xbf3bfb3b, v32, -v0
	v_fmac_f32_e32 v39, 0xbeae86e6, v25
	v_fmamk_f32 v10, v10, 0x3d64c772, v1
	v_fmac_f32_e32 v22, 0xbf955555, v23
	v_fma_f32 v23, 0x3f3bfb3b, v32, -v30
	v_fma_f32 v30, 0x3f3bfb3b, v33, -v31
	v_fma_f32 v1, 0xbf3bfb3b, v33, -v1
	v_fmamk_f32 v31, v24, 0x3eae86e6, v34
	v_fmamk_f32 v32, v25, 0x3eae86e6, v35
	v_fma_f32 v11, 0x3f5ff5aa, v11, -v34
	v_fma_f32 v3, 0x3f5ff5aa, v3, -v35
	v_fmac_f32_e32 v38, 0xbeae86e6, v24
	v_add_f32_e32 v0, v0, v42
	v_fmac_f32_e32 v39, 0x3ee1c552, v2
	v_add_f32_e32 v7, v7, v42
	v_add_f32_e32 v10, v10, v22
	;; [unrolled: 1-line block ×5, first 2 shown]
	v_fmac_f32_e32 v31, 0x3ee1c552, v6
	v_fmac_f32_e32 v32, 0x3ee1c552, v2
	;; [unrolled: 1-line block ×5, first 2 shown]
	v_add_f32_e32 v22, v39, v0
	v_sub_f32_e32 v104, v0, v39
	v_add_f32_e32 v0, v70, v94
	v_add_f32_e32 v6, v111, v53
	;; [unrolled: 1-line block ×3, first 2 shown]
	v_sub_f32_e32 v25, v10, v31
	v_sub_f32_e32 v23, v1, v38
	;; [unrolled: 1-line block ×3, first 2 shown]
	v_add_f32_e32 v93, v11, v30
	v_add_f32_e32 v96, v3, v33
	v_sub_f32_e32 v97, v30, v11
	v_add_f32_e32 v105, v38, v1
	v_sub_f32_e32 v108, v7, v32
	v_add_f32_e32 v109, v31, v10
	v_add_f32_e32 v1, v101, v18
	v_sub_f32_e32 v3, v101, v18
	v_add_f32_e32 v7, v254, v19
	v_sub_f32_e32 v10, v111, v53
	;; [unrolled: 2-line block ×4, first 2 shown]
	v_sub_f32_e32 v11, v254, v19
	v_add_f32_e32 v19, v63, v52
	v_sub_f32_e32 v31, v52, v63
	v_add_f32_e32 v33, v7, v1
	v_sub_f32_e32 v38, v6, v0
	v_sub_f32_e32 v0, v0, v18
	;; [unrolled: 1-line block ×3, first 2 shown]
	v_add_f32_e32 v34, v30, v10
	v_add_f32_e32 v18, v18, v32
	v_sub_f32_e32 v39, v7, v1
	v_sub_f32_e32 v1, v1, v19
	v_sub_f32_e32 v7, v19, v7
	v_add_f32_e32 v35, v31, v11
	v_sub_f32_e32 v42, v30, v10
	v_sub_f32_e32 v30, v2, v30
	;; [unrolled: 1-line block ×3, first 2 shown]
	v_add_f32_e32 v19, v19, v33
	v_add_f32_e32 v2, v34, v2
	;; [unrolled: 1-line block ×3, first 2 shown]
	v_sub_f32_e32 v43, v31, v11
	v_sub_f32_e32 v31, v3, v31
	;; [unrolled: 1-line block ×3, first 2 shown]
	v_add_f32_e32 v3, v35, v3
	v_add_f32_e32 v35, v19, v249
	v_mov_b32_e32 v52, v34
	v_mul_f32_e32 v0, 0x3f4a47b2, v0
	v_mul_f32_e32 v32, 0x3d64c772, v6
	;; [unrolled: 1-line block ×4, first 2 shown]
	v_fmac_f32_e32 v52, 0xbf955555, v18
	v_mov_b32_e32 v18, v35
	v_mul_f32_e32 v1, 0x3f4a47b2, v1
	v_mul_f32_e32 v33, 0x3d64c772, v7
	;; [unrolled: 1-line block ×4, first 2 shown]
	v_fmac_f32_e32 v18, 0xbf955555, v19
	v_fmamk_f32 v6, v6, 0x3d64c772, v0
	v_fma_f32 v19, 0x3f3bfb3b, v38, -v32
	v_fma_f32 v0, 0xbf3bfb3b, v38, -v0
	;; [unrolled: 1-line block ×3, first 2 shown]
	v_fmac_f32_e32 v60, 0xbeae86e6, v31
	v_fmamk_f32 v7, v7, 0x3d64c772, v1
	v_fma_f32 v32, 0x3f3bfb3b, v39, -v33
	v_fma_f32 v1, 0xbf3bfb3b, v39, -v1
	v_fmamk_f32 v33, v30, 0x3eae86e6, v42
	v_fma_f32 v10, 0x3f5ff5aa, v10, -v42
	v_fmac_f32_e32 v56, 0xbeae86e6, v30
	v_add_f32_e32 v30, v6, v52
	v_add_f32_e32 v6, v19, v52
	;; [unrolled: 1-line block ×3, first 2 shown]
	v_fmac_f32_e32 v11, 0x3ee1c552, v3
	v_fmac_f32_e32 v60, 0x3ee1c552, v3
	v_fmamk_f32 v38, v31, 0x3eae86e6, v43
	v_add_f32_e32 v31, v7, v18
	v_add_f32_e32 v7, v32, v18
	;; [unrolled: 1-line block ×3, first 2 shown]
	v_fmac_f32_e32 v10, 0x3ee1c552, v2
	v_fmac_f32_e32 v56, 0x3ee1c552, v2
	v_add_f32_e32 v52, v60, v0
	v_sub_f32_e32 v110, v6, v11
	v_add_f32_e32 v42, v11, v6
	v_sub_f32_e32 v6, v0, v60
	v_add_f32_e32 v0, v72, v252
	v_add_f32_e32 v18, v107, v45
	v_fmac_f32_e32 v33, 0x3ee1c552, v2
	v_fmac_f32_e32 v38, 0x3ee1c552, v3
	v_sub_f32_e32 v53, v1, v56
	v_add_f32_e32 v111, v10, v7
	v_sub_f32_e32 v43, v7, v10
	v_add_f32_e32 v7, v56, v1
	v_add_f32_e32 v1, v48, v36
	;; [unrolled: 1-line block ×6, first 2 shown]
	v_sub_f32_e32 v63, v31, v33
	v_sub_f32_e32 v10, v30, v38
	v_add_f32_e32 v11, v33, v31
	v_sub_f32_e32 v3, v48, v36
	v_sub_f32_e32 v30, v107, v45
	;; [unrolled: 1-line block ×3, first 2 shown]
	v_add_f32_e32 v33, v106, v41
	v_sub_f32_e32 v36, v49, v58
	v_sub_f32_e32 v38, v41, v106
	v_add_f32_e32 v40, v19, v1
	v_sub_f32_e32 v41, v18, v0
	v_sub_f32_e32 v0, v0, v32
	;; [unrolled: 1-line block ×3, first 2 shown]
	v_add_f32_e32 v32, v32, v39
	v_sub_f32_e32 v2, v72, v252
	v_sub_f32_e32 v44, v19, v1
	;; [unrolled: 1-line block ×4, first 2 shown]
	v_add_f32_e32 v45, v36, v30
	v_sub_f32_e32 v49, v36, v30
	v_add_f32_e32 v33, v33, v40
	v_add_f32_e32 v248, v32, v250
	;; [unrolled: 1-line block ×3, first 2 shown]
	v_sub_f32_e32 v56, v38, v31
	v_sub_f32_e32 v36, v2, v36
	;; [unrolled: 1-line block ×4, first 2 shown]
	v_add_f32_e32 v2, v45, v2
	v_add_f32_e32 v249, v33, v251
	v_mul_f32_e32 v45, 0xbf08b237, v49
	v_mov_b32_e32 v49, v248
	v_sub_f32_e32 v38, v3, v38
	v_add_f32_e32 v3, v48, v3
	v_mul_f32_e32 v0, 0x3f4a47b2, v0
	v_mul_f32_e32 v1, 0x3f4a47b2, v1
	;; [unrolled: 1-line block ×7, first 2 shown]
	v_fmac_f32_e32 v49, 0xbf955555, v32
	v_mov_b32_e32 v32, v249
	v_fmamk_f32 v18, v18, 0x3d64c772, v0
	v_fmamk_f32 v19, v19, 0x3d64c772, v1
	v_fma_f32 v0, 0xbf3bfb3b, v41, -v0
	v_fma_f32 v1, 0xbf3bfb3b, v44, -v1
	v_fmac_f32_e32 v32, 0xbf955555, v33
	v_fma_f32 v33, 0x3f3bfb3b, v41, -v39
	v_fma_f32 v39, 0x3f3bfb3b, v44, -v40
	;; [unrolled: 1-line block ×4, first 2 shown]
	v_fmac_f32_e32 v56, 0xbeae86e6, v36
	v_fmac_f32_e32 v58, 0xbeae86e6, v38
	v_fmamk_f32 v40, v36, 0x3eae86e6, v45
	v_fmamk_f32 v41, v38, 0x3eae86e6, v48
	v_add_f32_e32 v36, v18, v49
	v_add_f32_e32 v45, v19, v32
	;; [unrolled: 1-line block ×6, first 2 shown]
	v_fmac_f32_e32 v44, 0x3ee1c552, v2
	v_fmac_f32_e32 v30, 0x3ee1c552, v3
	;; [unrolled: 1-line block ×6, first 2 shown]
	v_sub_f32_e32 v32, v18, v30
	v_sub_f32_e32 v39, v1, v56
	v_add_f32_e32 v38, v58, v0
	v_add_f32_e32 v33, v44, v19
	;; [unrolled: 1-line block ×3, first 2 shown]
	v_sub_f32_e32 v31, v19, v44
	v_sub_f32_e32 v18, v0, v58
	v_add_f32_e32 v19, v56, v1
	v_add_f32_e32 v0, v74, v253
	;; [unrolled: 1-line block ×3, first 2 shown]
	v_sub_f32_e32 v3, v75, v28
	v_add_f32_e32 v28, v37, v242
	v_add_f32_e32 v48, v41, v36
	v_sub_f32_e32 v49, v45, v40
	v_sub_f32_e32 v106, v36, v41
	v_add_f32_e32 v107, v40, v45
	v_add_f32_e32 v36, v73, v243
	v_sub_f32_e32 v37, v37, v242
	v_add_f32_e32 v41, v54, v50
	v_sub_f32_e32 v45, v50, v54
	;; [unrolled: 2-line block ×3, first 2 shown]
	v_sub_f32_e32 v40, v73, v243
	v_add_f32_e32 v44, v65, v69
	v_sub_f32_e32 v50, v69, v65
	v_add_f32_e32 v56, v36, v1
	v_sub_f32_e32 v58, v28, v0
	v_sub_f32_e32 v0, v0, v41
	;; [unrolled: 1-line block ×3, first 2 shown]
	v_add_f32_e32 v60, v45, v37
	v_add_f32_e32 v41, v41, v54
	v_sub_f32_e32 v64, v36, v1
	v_sub_f32_e32 v1, v1, v44
	;; [unrolled: 1-line block ×3, first 2 shown]
	v_add_f32_e32 v61, v50, v40
	v_sub_f32_e32 v65, v45, v37
	v_sub_f32_e32 v66, v50, v40
	;; [unrolled: 1-line block ×5, first 2 shown]
	v_add_f32_e32 v44, v44, v56
	v_add_f32_e32 v2, v60, v2
	;; [unrolled: 1-line block ×3, first 2 shown]
	v_sub_f32_e32 v50, v3, v50
	v_add_f32_e32 v3, v61, v3
	v_add_f32_e32 v61, v44, v245
	v_mul_f32_e32 v0, 0x3f4a47b2, v0
	v_mul_f32_e32 v72, 0xbf5ff5aa, v40
	v_mov_b32_e32 v68, v60
	v_mul_f32_e32 v54, 0x3d64c772, v28
	v_mul_f32_e32 v56, 0x3d64c772, v36
	;; [unrolled: 1-line block ×4, first 2 shown]
	v_fmac_f32_e32 v68, 0xbf955555, v41
	v_mov_b32_e32 v41, v61
	v_fmamk_f32 v28, v28, 0x3d64c772, v0
	v_fma_f32 v0, 0xbf3bfb3b, v58, -v0
	v_fmac_f32_e32 v72, 0xbeae86e6, v50
	v_fma_f32 v37, 0x3f5ff5aa, v37, -v65
	v_fmac_f32_e32 v41, 0xbf955555, v44
	v_fma_f32 v44, 0x3f3bfb3b, v58, -v54
	v_fma_f32 v54, 0x3f3bfb3b, v64, -v56
	v_fmamk_f32 v56, v45, 0x3eae86e6, v65
	v_fmac_f32_e32 v70, 0xbeae86e6, v45
	v_add_f32_e32 v0, v0, v68
	v_fmac_f32_e32 v72, 0x3ee1c552, v3
	v_fmac_f32_e32 v37, 0x3ee1c552, v2
	;; [unrolled: 1-line block ×4, first 2 shown]
	v_sub_f32_e32 v2, v128, v29
	v_add_f32_e32 v250, v72, v0
	v_sub_f32_e32 v72, v0, v72
	v_add_f32_e32 v0, v128, v29
	buffer_load_dword v128, off, s[16:19], 0 offset:992 ; 4-byte Folded Reload
	v_mul_f32_e32 v1, 0x3f4a47b2, v1
	v_mul_f32_e32 v66, 0xbf08b237, v66
	v_add_f32_e32 v28, v28, v68
	v_add_f32_e32 v45, v54, v41
	;; [unrolled: 1-line block ×3, first 2 shown]
	v_fmamk_f32 v36, v36, 0x3d64c772, v1
	v_fma_f32 v1, 0xbf3bfb3b, v64, -v1
	v_fmamk_f32 v58, v50, 0x3eae86e6, v66
	v_fma_f32 v40, 0x3f5ff5aa, v40, -v66
	v_add_f32_e32 v243, v37, v45
	v_add_f32_e32 v36, v36, v41
	;; [unrolled: 1-line block ×3, first 2 shown]
	v_fmac_f32_e32 v58, 0x3ee1c552, v3
	v_fmac_f32_e32 v40, 0x3ee1c552, v3
	v_sub_f32_e32 v3, v51, v4
	v_sub_f32_e32 v75, v45, v37
	;; [unrolled: 1-line block ×3, first 2 shown]
	v_add_f32_e32 v73, v70, v1
	v_add_f32_e32 v1, v51, v4
	;; [unrolled: 1-line block ×4, first 2 shown]
	v_sub_f32_e32 v64, v28, v58
	v_add_f32_e32 v28, v57, v67
	v_sub_f32_e32 v29, v130, v116
	v_add_f32_e32 v37, v135, v129
	;; [unrolled: 2-line block ×3, first 2 shown]
	v_sub_f32_e32 v69, v36, v56
	v_sub_f32_e32 v242, v44, v40
	v_add_f32_e32 v74, v40, v44
	v_add_f32_e32 v65, v56, v36
	v_sub_f32_e32 v36, v57, v67
	v_add_f32_e32 v40, v55, v59
	v_sub_f32_e32 v44, v59, v55
	;; [unrolled: 2-line block ×3, first 2 shown]
	v_sub_f32_e32 v55, v0, v37
	v_sub_f32_e32 v4, v37, v4
	v_add_f32_e32 v0, v41, v29
	v_add_f32_e32 v37, v37, v45
	v_sub_f32_e32 v54, v28, v1
	v_sub_f32_e32 v56, v1, v40
	;; [unrolled: 1-line block ×3, first 2 shown]
	v_add_f32_e32 v1, v44, v36
	v_sub_f32_e32 v57, v41, v29
	v_sub_f32_e32 v41, v2, v41
	;; [unrolled: 1-line block ×3, first 2 shown]
	v_add_f32_e32 v40, v40, v50
	v_add_f32_e32 v2, v0, v2
	v_add_f32_e32 v0, v37, v246
	v_sub_f32_e32 v58, v44, v36
	v_sub_f32_e32 v44, v3, v44
	;; [unrolled: 1-line block ×3, first 2 shown]
	v_add_f32_e32 v3, v1, v3
	v_add_f32_e32 v1, v40, v247
	v_mov_b32_e32 v59, v0
	v_mul_f32_e32 v45, 0x3f4a47b2, v55
	v_mul_f32_e32 v50, 0x3f4a47b2, v56
	v_mul_f32_e32 v55, 0x3d64c772, v4
	v_mul_f32_e32 v57, 0xbf08b237, v57
	v_mul_f32_e32 v58, 0xbf08b237, v58
	v_fmac_f32_e32 v59, 0xbf955555, v37
	v_mov_b32_e32 v37, v1
	v_mul_f32_e32 v56, 0x3d64c772, v28
	v_mul_f32_e32 v76, 0xbf5ff5aa, v36
	v_fmamk_f32 v4, v4, 0x3d64c772, v45
	v_fmamk_f32 v28, v28, 0x3d64c772, v50
	v_fmac_f32_e32 v37, 0xbf955555, v40
	v_fma_f32 v40, 0x3f3bfb3b, v51, -v55
	v_fma_f32 v45, 0xbf3bfb3b, v51, -v45
	v_fmamk_f32 v51, v41, 0x3eae86e6, v57
	v_fma_f32 v36, 0x3f5ff5aa, v36, -v58
	v_add_f32_e32 v28, v28, v37
	v_add_f32_e32 v40, v40, v59
	v_fma_f32 v55, 0x3f3bfb3b, v54, -v56
	v_fmac_f32_e32 v51, 0x3ee1c552, v2
	v_fmac_f32_e32 v36, 0x3ee1c552, v3
	v_fmamk_f32 v77, v44, 0x3eae86e6, v58
	v_mul_f32_e32 v70, 0xbf5ff5aa, v29
	v_fma_f32 v29, 0x3f5ff5aa, v29, -v57
	v_sub_f32_e32 v245, v28, v51
	v_sub_f32_e32 v58, v40, v36
	v_add_f32_e32 v56, v36, v40
	v_add_f32_e32 v51, v51, v28
	v_fmac_f32_e32 v70, 0xbeae86e6, v41
	v_fmac_f32_e32 v76, 0xbeae86e6, v44
	v_fma_f32 v50, 0xbf3bfb3b, v54, -v50
	v_add_f32_e32 v41, v55, v37
	v_add_f32_e32 v44, v45, v59
	v_fmac_f32_e32 v29, 0x3ee1c552, v2
	v_fmac_f32_e32 v70, 0x3ee1c552, v2
	;; [unrolled: 1-line block ×3, first 2 shown]
	v_add_f32_e32 v2, v78, v27
	v_add_f32_e32 v4, v4, v59
	;; [unrolled: 1-line block ×3, first 2 shown]
	v_fmac_f32_e32 v77, 0x3ee1c552, v3
	v_add_f32_e32 v66, v76, v44
	v_add_f32_e32 v59, v29, v41
	v_sub_f32_e32 v57, v41, v29
	v_sub_f32_e32 v54, v44, v76
	v_add_f32_e32 v3, v71, v98
	v_add_f32_e32 v29, v26, v5
	v_sub_f32_e32 v5, v26, v5
	v_sub_f32_e32 v67, v37, v70
	v_add_f32_e32 v55, v70, v37
	v_add_f32_e32 v37, v95, v255
	;; [unrolled: 1-line block ×4, first 2 shown]
	v_sub_f32_e32 v50, v4, v77
	v_sub_f32_e32 v4, v78, v27
	;; [unrolled: 1-line block ×7, first 2 shown]
	v_add_f32_e32 v37, v37, v45
	v_add_f32_e32 v77, v41, v5
	v_add_nc_u32_e32 v129, 0x4000, v100
	v_mul_f32_e32 v3, 0x3f4a47b2, v3
	v_mul_f32_e32 v45, 0x3d64c772, v29
	v_add_f32_e32 v95, v37, v241
	v_add_nc_u32_e32 v130, 0x3000, v100
	v_fmamk_f32 v29, v29, 0x3d64c772, v3
	v_fma_f32 v3, 0xbf3bfb3b, v71, -v3
	s_waitcnt vmcnt(0)
	v_add_f32_e32 v28, v79, v128
	v_sub_f32_e32 v36, v79, v128
	s_clause 0x1
	buffer_load_dword v128, off, s[16:19], 0 offset:984
	buffer_load_dword v135, off, s[16:19], 0 offset:988
	v_sub_f32_e32 v79, v41, v5
	v_sub_f32_e32 v5, v5, v27
	v_add_f32_e32 v44, v28, v2
	v_sub_f32_e32 v70, v28, v2
	v_sub_f32_e32 v41, v27, v41
	v_add_f32_e32 v27, v77, v27
	v_mul_f32_e32 v77, 0xbf08b237, v79
	v_mul_f32_e32 v79, 0xbf5ff5aa, v5
	ds_write_b64 v100, v[20:21] offset:2744
	ds_write_b64 v100, v[12:13] offset:5488
	;; [unrolled: 1-line block ×6, first 2 shown]
	ds_write2_b64 v100, v[8:9], v[46:47] offset1:49
	ds_write2_b64 v119, v[24:25], v[62:63] offset0:136 offset1:185
	v_add_nc_u32_e32 v62, 0x1400, v100
	v_fma_f32 v5, 0x3f5ff5aa, v5, -v77
	v_fmac_f32_e32 v79, 0xbeae86e6, v41
	v_add_nc_u32_e32 v14, 0x2800, v100
	v_add_nc_u32_e32 v63, 0x2c00, v100
	ds_write2_b64 v62, v[22:23], v[52:53] offset0:95 offset1:144
	v_fmac_f32_e32 v5, 0x3ee1c552, v27
	v_add_nc_u32_e32 v53, 0x2000, v100
	v_add_nc_u32_e32 v52, 0x3400, v100
	v_fmac_f32_e32 v79, 0x3ee1c552, v27
	ds_write2_b64 v14, v[96:97], v[42:43] offset0:141 offset1:190
	ds_write2_b64 v53, v[92:93], v[110:111] offset0:54 offset1:103
	;; [unrolled: 1-line block ×5, first 2 shown]
	v_mov_b32_e32 v109, v14
	s_waitcnt vmcnt(0)
	v_add_f32_e32 v26, v128, v135
	v_sub_f32_e32 v40, v135, v128
	v_add_nc_u32_e32 v128, 0xc00, v100
	v_sub_f32_e32 v2, v2, v26
	v_sub_f32_e32 v28, v26, v28
	v_add_f32_e32 v26, v26, v44
	v_add_f32_e32 v76, v40, v36
	v_sub_f32_e32 v78, v40, v36
	v_sub_f32_e32 v36, v36, v4
	;; [unrolled: 1-line block ×3, first 2 shown]
	v_add_f32_e32 v94, v26, v240
	v_add_f32_e32 v4, v76, v4
	v_mul_f32_e32 v2, 0x3f4a47b2, v2
	v_mul_f32_e32 v44, 0x3d64c772, v28
	;; [unrolled: 1-line block ×3, first 2 shown]
	v_mov_b32_e32 v86, v94
	v_mul_f32_e32 v78, 0xbf5ff5aa, v36
	v_fmamk_f32 v28, v28, 0x3d64c772, v2
	v_fma_f32 v2, 0xbf3bfb3b, v70, -v2
	v_fma_f32 v36, 0x3f5ff5aa, v36, -v76
	v_fmac_f32_e32 v86, 0xbf955555, v26
	v_mov_b32_e32 v26, v95
	v_fmac_f32_e32 v78, 0xbeae86e6, v40
	ds_write2_b64 v128, v[48:49], v[68:69] offset0:106 offset1:155
	v_fmac_f32_e32 v36, 0x3ee1c552, v4
	v_add_f32_e32 v28, v28, v86
	v_fmac_f32_e32 v26, 0xbf955555, v37
	v_fma_f32 v37, 0x3f3bfb3b, v70, -v44
	v_fma_f32 v44, 0x3f3bfb3b, v71, -v45
	v_fmamk_f32 v45, v40, 0x3eae86e6, v76
	v_fmamk_f32 v70, v41, 0x3eae86e6, v77
	v_add_f32_e32 v29, v29, v26
	v_add_f32_e32 v37, v37, v86
	;; [unrolled: 1-line block ×3, first 2 shown]
	v_fmac_f32_e32 v45, 0x3ee1c552, v4
	v_fmac_f32_e32 v70, 0x3ee1c552, v27
	;; [unrolled: 1-line block ×3, first 2 shown]
	v_add_nc_u32_e32 v4, 0x1800, v100
	v_add_f32_e32 v41, v2, v86
	v_add_f32_e32 v26, v3, v26
	;; [unrolled: 1-line block ×3, first 2 shown]
	v_sub_f32_e32 v3, v29, v45
	v_sub_f32_e32 v254, v37, v5
	v_add_f32_e32 v255, v36, v40
	v_add_f32_e32 v246, v5, v37
	v_sub_f32_e32 v247, v40, v36
	ds_write2_b64 v4, v[38:39], v[250:251] offset0:65 offset1:114
	ds_write2_b64 v53, v[32:33], v[242:243] offset0:152 offset1:201
	;; [unrolled: 1-line block ×6, first 2 shown]
	ds_write_b64 v100, v[94:95] offset:2352
	v_add_nc_u32_e32 v61, 0x1000, v100
	v_add_nc_u32_e32 v60, 0x2400, v100
	v_add_f32_e32 v86, v79, v41
	v_sub_f32_e32 v87, v26, v78
	v_sub_f32_e32 v240, v41, v79
	v_add_f32_e32 v241, v78, v26
	v_sub_f32_e32 v70, v28, v70
	v_add_f32_e32 v71, v45, v29
	ds_write2_b64 v61, v[244:245], v[2:3] offset0:76 offset1:125
	ds_write2_b64 v4, v[66:67], v[86:87] offset0:163 offset1:212
	;; [unrolled: 1-line block ×5, first 2 shown]
	v_add_nc_u32_e32 v57, 0x4400, v100
	v_mov_b32_e32 v64, v4
	v_add_co_u32 v4, vcc_lo, 0x4b08, v102
	v_add_co_ci_u32_e32 v5, vcc_lo, 0, v103, vcc_lo
	ds_write2_b64 v57, v[50:51], v[70:71] offset0:127 offset1:176
	s_waitcnt lgkmcnt(0)
	s_waitcnt_vscnt null, 0x0
	s_barrier
	buffer_gl0_inv
	ds_read2_b64 v[20:23], v100 offset1:49
	s_clause 0x1
	buffer_load_dword v0, off, s[16:19], 0 offset:976
	buffer_load_dword v1, off, s[16:19], 0 offset:980
	v_add_co_u32 v26, vcc_lo, 0x5000, v102
	v_add_co_ci_u32_e32 v27, vcc_lo, 0, v103, vcc_lo
	v_add_co_u32 v12, vcc_lo, 0x6000, v102
	v_add_co_ci_u32_e32 v13, vcc_lo, 0, v103, vcc_lo
	v_add_nc_u32_e32 v56, 0x1c00, v100
	v_mov_b32_e32 v58, v53
	v_mov_b32_e32 v59, v52
	;; [unrolled: 1-line block ×8, first 2 shown]
	s_waitcnt vmcnt(0)
	global_load_dwordx2 v[0:1], v[0:1], off offset:776
	s_waitcnt vmcnt(0) lgkmcnt(0)
	v_mul_f32_e32 v2, v21, v1
	v_mul_f32_e32 v3, v20, v1
	v_fma_f32 v2, v20, v0, -v2
	v_fmac_f32_e32 v3, v21, v0
	global_load_dwordx2 v[0:1], v[26:27], off offset:1472
	ds_write_b64 v100, v[2:3]
	ds_read2_b64 v[6:9], v119 offset0:38 offset1:87
	ds_read2_b64 v[30:33], v61 offset0:174 offset1:223
	;; [unrolled: 1-line block ×4, first 2 shown]
	s_waitcnt vmcnt(0) lgkmcnt(3)
	v_mul_f32_e32 v2, v9, v1
	v_mul_f32_e32 v43, v8, v1
	v_fma_f32 v42, v8, v0, -v2
	v_fmac_f32_e32 v43, v9, v0
	global_load_dwordx2 v[0:1], v[12:13], off offset:120
	ds_read2_b64 v[8:11], v56 offset0:84 offset1:133
	s_waitcnt vmcnt(0) lgkmcnt(3)
	v_mul_f32_e32 v2, v31, v1
	v_mul_f32_e32 v29, v30, v1
	v_fma_f32 v28, v30, v0, -v2
	v_add_co_u32 v30, vcc_lo, 0x6800, v102
	v_fmac_f32_e32 v29, v31, v0
	v_add_co_ci_u32_e32 v31, vcc_lo, 0, v103, vcc_lo
	v_add_co_u32 v20, vcc_lo, 0x7000, v102
	v_add_co_ci_u32_e32 v21, vcc_lo, 0, v103, vcc_lo
	global_load_dwordx2 v[0:1], v[30:31], off offset:816
	s_waitcnt vmcnt(0) lgkmcnt(0)
	v_mul_f32_e32 v2, v11, v1
	v_mul_f32_e32 v45, v10, v1
	v_fma_f32 v44, v10, v0, -v2
	v_fmac_f32_e32 v45, v11, v0
	global_load_dwordx2 v[0:1], v[20:21], off offset:1512
	v_add_co_u32 v10, vcc_lo, 0x8000, v102
	v_add_co_ci_u32_e32 v11, vcc_lo, 0, v103, vcc_lo
	global_load_dwordx2 v[14:15], v[10:11], off offset:160
	s_waitcnt vmcnt(1)
	v_mul_f32_e32 v2, v35, v1
	v_mul_f32_e32 v19, v34, v1
	v_fma_f32 v18, v34, v0, -v2
	v_fmac_f32_e32 v19, v35, v0
	ds_read2_b64 v[0:3], v130 offset0:130 offset1:179
	s_waitcnt vmcnt(0) lgkmcnt(0)
	v_mul_f32_e32 v16, v3, v15
	v_mul_f32_e32 v47, v2, v15
	v_fma_f32 v46, v2, v14, -v16
	v_add_co_u32 v16, vcc_lo, 0x8800, v102
	v_add_co_ci_u32_e32 v17, vcc_lo, 0, v103, vcc_lo
	v_fmac_f32_e32 v47, v3, v14
	global_load_dwordx2 v[2:3], v[16:17], off offset:856
	s_waitcnt vmcnt(0)
	v_mul_f32_e32 v14, v39, v3
	v_mul_f32_e32 v15, v38, v3
	v_fma_f32 v14, v38, v2, -v14
	v_fmac_f32_e32 v15, v39, v2
	global_load_dwordx2 v[2:3], v[4:5], off offset:392
	s_waitcnt vmcnt(0)
	v_mul_f32_e32 v24, v23, v3
	v_mul_f32_e32 v49, v22, v3
	v_fma_f32 v48, v22, v2, -v24
	v_fmac_f32_e32 v49, v23, v2
	global_load_dwordx2 v[2:3], v[26:27], off offset:1864
	ds_read2_b64 v[22:25], v119 offset0:136 offset1:185
	global_load_dwordx2 v[26:27], v[26:27], off offset:1080
	s_waitcnt vmcnt(1) lgkmcnt(0)
	v_mul_f32_e32 v34, v23, v3
	v_mul_f32_e32 v35, v22, v3
	v_fma_f32 v34, v22, v2, -v34
	v_fmac_f32_e32 v35, v23, v2
	global_load_dwordx2 v[2:3], v[12:13], off offset:512
	ds_write2_b64 v119, v[42:43], v[34:35] offset0:87 offset1:136
	s_waitcnt vmcnt(0)
	v_mul_f32_e32 v22, v33, v3
	v_mul_f32_e32 v23, v32, v3
	v_fma_f32 v22, v32, v2, -v22
	v_fmac_f32_e32 v23, v33, v2
	global_load_dwordx2 v[2:3], v[30:31], off offset:1208
	ds_read2_b64 v[32:35], v53 offset0:54 offset1:103
	s_waitcnt vmcnt(0) lgkmcnt(0)
	v_mul_f32_e32 v38, v33, v3
	v_mul_f32_e32 v39, v32, v3
	v_fma_f32 v38, v32, v2, -v38
	v_fmac_f32_e32 v39, v33, v2
	global_load_dwordx2 v[2:3], v[20:21], off offset:1904
	ds_write2_b64 v53, v[44:45], v[38:39] offset0:5 offset1:54
	s_waitcnt vmcnt(0)
	v_mul_f32_e32 v32, v37, v3
	v_mul_f32_e32 v51, v36, v3
	v_fma_f32 v50, v36, v2, -v32
	v_fmac_f32_e32 v51, v37, v2
	global_load_dwordx2 v[2:3], v[10:11], off offset:552
	ds_read2_b64 v[36:39], v52 offset0:100 offset1:149
	s_waitcnt vmcnt(0) lgkmcnt(0)
	v_mul_f32_e32 v32, v37, v3
	v_mul_f32_e32 v33, v36, v3
	v_fma_f32 v32, v36, v2, -v32
	v_fmac_f32_e32 v33, v37, v2
	global_load_dwordx2 v[2:3], v[16:17], off offset:1248
	ds_write2_b64 v130, v[46:47], v[32:33] offset0:179 offset1:228
	ds_read2_b64 v[44:47], v64 offset0:16 offset1:65
	s_waitcnt vmcnt(0)
	v_mul_f32_e32 v32, v41, v3
	v_mul_f32_e32 v53, v40, v3
	v_fma_f32 v52, v40, v2, -v32
	v_fmac_f32_e32 v53, v41, v2
	global_load_dwordx2 v[2:3], v[4:5], off offset:784
	ds_read2_b64 v[40:43], v100 offset0:98 offset1:147
	s_waitcnt vmcnt(0) lgkmcnt(0)
	v_mul_f32_e32 v32, v41, v3
	v_mul_f32_e32 v33, v40, v3
	v_fma_f32 v32, v40, v2, -v32
	v_fmac_f32_e32 v33, v41, v2
	ds_write2_b64 v100, v[48:49], v[32:33] offset0:49 offset1:98
	v_add_co_u32 v48, vcc_lo, 0x5800, v102
	v_add_co_ci_u32_e32 v49, vcc_lo, 0, v103, vcc_lo
	global_load_dwordx2 v[2:3], v[48:49], off offset:208
	s_waitcnt vmcnt(0)
	v_mul_f32_e32 v32, v25, v3
	v_mul_f32_e32 v55, v24, v3
	v_fma_f32 v54, v24, v2, -v32
	v_fmac_f32_e32 v55, v25, v2
	global_load_dwordx2 v[2:3], v[12:13], off offset:904
	s_waitcnt vmcnt(0)
	v_mul_f32_e32 v24, v45, v3
	v_mul_f32_e32 v25, v44, v3
	v_fma_f32 v24, v44, v2, -v24
	v_fmac_f32_e32 v25, v45, v2
	global_load_dwordx2 v[2:3], v[30:31], off offset:1600
	ds_write2_b64 v62, v[22:23], v[24:25] offset0:95 offset1:144
	v_add_co_u32 v24, vcc_lo, 0x7800, v102
	v_add_co_ci_u32_e32 v25, vcc_lo, 0, v103, vcc_lo
	s_waitcnt vmcnt(0)
	v_mul_f32_e32 v22, v35, v3
	v_mul_f32_e32 v23, v34, v3
	v_fma_f32 v22, v34, v2, -v22
	v_fmac_f32_e32 v23, v35, v2
	global_load_dwordx2 v[2:3], v[24:25], off offset:248
	ds_read2_b64 v[32:35], v109 offset0:190 offset1:239
	s_waitcnt vmcnt(0) lgkmcnt(0)
	v_mul_f32_e32 v36, v33, v3
	v_mul_f32_e32 v37, v32, v3
	v_fma_f32 v36, v32, v2, -v36
	v_fmac_f32_e32 v37, v33, v2
	global_load_dwordx2 v[2:3], v[10:11], off offset:944
	ds_write2_b64 v109, v[50:51], v[36:37] offset0:141 offset1:190
	s_waitcnt vmcnt(0)
	v_mul_f32_e32 v32, v39, v3
	v_mul_f32_e32 v51, v38, v3
	v_fma_f32 v50, v38, v2, -v32
	v_fmac_f32_e32 v51, v39, v2
	global_load_dwordx2 v[2:3], v[16:17], off offset:1640
	ds_read2_b64 v[36:39], v129 offset0:108 offset1:157
	s_waitcnt vmcnt(0) lgkmcnt(0)
	v_mul_f32_e32 v32, v37, v3
	v_mul_f32_e32 v33, v36, v3
	v_fma_f32 v32, v36, v2, -v32
	v_fmac_f32_e32 v33, v37, v2
	global_load_dwordx2 v[2:3], v[4:5], off offset:1176
	ds_write2_b64 v129, v[52:53], v[32:33] offset0:59 offset1:108
	;; [unrolled: 14-line block ×8, first 2 shown]
	v_add_co_u32 v22, vcc_lo, 0x9000, v102
	v_add_co_ci_u32_e32 v23, vcc_lo, 0, v103, vcc_lo
	s_waitcnt vmcnt(0)
	v_mul_f32_e32 v10, v35, v3
	v_mul_f32_e32 v45, v34, v3
	v_fma_f32 v44, v34, v2, -v10
	v_fmac_f32_e32 v45, v35, v2
	global_load_dwordx2 v[2:3], v[22:23], off offset:376
	ds_read2_b64 v[32:35], v129 offset0:206 offset1:255
	s_waitcnt vmcnt(0) lgkmcnt(0)
	v_mul_f32_e32 v10, v33, v3
	v_mul_f32_e32 v11, v32, v3
	v_fma_f32 v10, v32, v2, -v10
	v_fmac_f32_e32 v11, v33, v2
	global_load_dwordx2 v[2:3], v[4:5], off offset:1960
	ds_write2_b64 v129, v[50:51], v[10:11] offset0:157 offset1:206
	ds_read2_b64 v[10:13], v60 offset0:122 offset1:171
	s_waitcnt vmcnt(0)
	v_mul_f32_e32 v4, v39, v3
	v_mul_f32_e32 v33, v38, v3
	v_fma_f32 v32, v38, v2, -v4
	v_fmac_f32_e32 v33, v39, v2
	global_load_dwordx2 v[2:3], v[48:49], off offset:1384
	ds_read2_b64 v[36:39], v61 offset0:76 offset1:125
	s_waitcnt vmcnt(0) lgkmcnt(0)
	v_mul_f32_e32 v4, v37, v3
	v_mul_f32_e32 v5, v36, v3
	v_fma_f32 v4, v36, v2, -v4
	v_fmac_f32_e32 v5, v37, v2
	global_load_dwordx2 v[2:3], v[30:31], off offset:32
	ds_write2_b64 v61, v[52:53], v[4:5] offset0:27 offset1:76
	s_waitcnt vmcnt(0)
	v_mul_f32_e32 v4, v43, v3
	v_mul_f32_e32 v37, v42, v3
	v_fma_f32 v36, v42, v2, -v4
	v_fmac_f32_e32 v37, v43, v2
	global_load_dwordx2 v[2:3], v[20:21], off offset:728
	s_waitcnt vmcnt(0)
	v_mul_f32_e32 v4, v11, v3
	v_mul_f32_e32 v5, v10, v3
	v_fma_f32 v4, v10, v2, -v4
	v_fmac_f32_e32 v5, v11, v2
	global_load_dwordx2 v[2:3], v[24:25], off offset:1424
	ds_write2_b64 v58, v[40:41], v[4:5] offset0:201 offset1:250
	global_load_dwordx2 v[40:41], v[16:17], off offset:72
	s_waitcnt vmcnt(1)
	v_mul_f32_e32 v4, v47, v3
	v_mul_f32_e32 v11, v46, v3
	v_fma_f32 v10, v46, v2, -v4
	v_fmac_f32_e32 v11, v47, v2
	ds_read2_b64 v[2:5], v118 offset0:168 offset1:217
	s_waitcnt vmcnt(0) lgkmcnt(0)
	v_mul_f32_e32 v42, v3, v41
	v_mul_f32_e32 v43, v2, v41
	v_fma_f32 v42, v2, v40, -v42
	v_fmac_f32_e32 v43, v3, v40
	global_load_dwordx2 v[40:41], v[22:23], off offset:768
	ds_write2_b64 v118, v[44:45], v[42:43] offset0:119 offset1:168
	s_waitcnt vmcnt(0)
	v_mul_f32_e32 v2, v35, v41
	v_mul_f32_e32 v3, v34, v41
	v_fma_f32 v2, v34, v40, -v2
	v_fmac_f32_e32 v3, v35, v40
	v_mul_f32_e32 v34, v7, v27
	v_mul_f32_e32 v35, v6, v27
	v_fma_f32 v34, v6, v26, -v34
	v_fmac_f32_e32 v35, v7, v26
	v_add_nc_u32_e32 v6, 0x400, v100
	ds_write2_b64 v6, v[32:33], v[34:35] offset0:117 offset1:166
	global_load_dwordx2 v[6:7], v[48:49], off offset:1776
	s_waitcnt vmcnt(0)
	v_mul_f32_e32 v26, v39, v7
	v_mul_f32_e32 v27, v38, v7
	v_fma_f32 v26, v38, v6, -v26
	v_fmac_f32_e32 v27, v39, v6
	global_load_dwordx2 v[6:7], v[30:31], off offset:424
	ds_write2_b64 v61, v[26:27], v[28:29] offset0:125 offset1:174
	s_waitcnt vmcnt(0)
	v_mul_f32_e32 v26, v9, v7
	v_mul_f32_e32 v27, v8, v7
	v_fma_f32 v26, v8, v6, -v26
	v_fmac_f32_e32 v27, v9, v6
	global_load_dwordx2 v[6:7], v[20:21], off offset:1120
	ds_write2_b64 v64, v[36:37], v[26:27] offset0:163 offset1:212
	;; [unrolled: 7-line block ×4, first 2 shown]
	s_waitcnt vmcnt(0)
	v_mul_f32_e32 v6, v5, v1
	v_mul_f32_e32 v7, v4, v1
	v_fma_f32 v6, v4, v0, -v6
	v_fmac_f32_e32 v7, v5, v0
	global_load_dwordx2 v[4:5], v[22:23], off offset:1160
	v_add_nc_u32_e32 v0, 0x3c00, v100
	ds_write2_b64 v0, v[6:7], v[14:15] offset0:89 offset1:138
	ds_read_b64 v[0:1], v100 offset:18816
	s_waitcnt vmcnt(0) lgkmcnt(0)
	v_mul_f32_e32 v6, v1, v5
	v_mul_f32_e32 v7, v0, v5
	v_fma_f32 v6, v0, v4, -v6
	v_fmac_f32_e32 v7, v1, v4
	ds_write2_b64 v57, v[2:3], v[6:7] offset0:127 offset1:176
	s_waitcnt lgkmcnt(0)
	s_barrier
	buffer_gl0_inv
	ds_read2_b64 v[16:19], v100 offset1:49
	ds_read2_b64 v[240:243], v119 offset0:38 offset1:87
	ds_read2_b64 v[72:75], v61 offset0:174 offset1:223
	;; [unrolled: 1-line block ×23, first 2 shown]
	ds_read_b64 v[68:69], v100 offset:18816
	s_waitcnt lgkmcnt(0)
	s_barrier
	buffer_gl0_inv
	v_add_f32_e32 v70, v242, v84
	v_add_f32_e32 v92, v72, v246
	;; [unrolled: 1-line block ×5, first 2 shown]
	v_sub_f32_e32 v84, v242, v84
	v_add_f32_e32 v96, v92, v70
	v_sub_f32_e32 v85, v243, v85
	v_sub_f32_e32 v72, v72, v246
	;; [unrolled: 1-line block ×3, first 2 shown]
	v_add_f32_e32 v95, v255, v77
	v_sub_f32_e32 v76, v76, v254
	v_sub_f32_e32 v77, v77, v255
	v_add_f32_e32 v97, v93, v71
	v_sub_f32_e32 v98, v92, v70
	v_sub_f32_e32 v70, v70, v94
	;; [unrolled: 1-line block ×3, first 2 shown]
	v_add_f32_e32 v94, v94, v96
	v_sub_f32_e32 v99, v93, v71
	v_sub_f32_e32 v71, v71, v95
	;; [unrolled: 1-line block ×3, first 2 shown]
	v_add_f32_e32 v101, v76, v72
	v_add_f32_e32 v102, v77, v73
	v_sub_f32_e32 v103, v76, v72
	v_sub_f32_e32 v104, v77, v73
	;; [unrolled: 1-line block ×4, first 2 shown]
	v_add_f32_e32 v95, v95, v97
	v_add_f32_e32 v72, v94, v16
	v_sub_f32_e32 v77, v85, v77
	v_add_f32_e32 v85, v102, v85
	v_mul_f32_e32 v16, 0x3f4a47b2, v70
	v_add_f32_e32 v73, v95, v17
	v_mul_f32_e32 v70, 0x3d64c772, v92
	v_mul_f32_e32 v96, 0x3f08b237, v103
	;; [unrolled: 1-line block ×4, first 2 shown]
	v_mov_b32_e32 v103, v72
	v_sub_f32_e32 v76, v84, v76
	v_add_f32_e32 v84, v101, v84
	v_mul_f32_e32 v17, 0x3f4a47b2, v71
	v_mul_f32_e32 v71, 0x3d64c772, v93
	v_mul_f32_e32 v101, 0x3f5ff5aa, v105
	v_fmac_f32_e32 v103, 0xbf955555, v94
	v_mov_b32_e32 v94, v73
	v_fmamk_f32 v92, v92, 0x3d64c772, v16
	v_fma_f32 v70, 0x3f3bfb3b, v98, -v70
	v_fma_f32 v16, 0xbf3bfb3b, v98, -v16
	v_fmamk_f32 v98, v77, 0xbeae86e6, v97
	v_fma_f32 v97, 0xbf5ff5aa, v106, -v97
	v_fmac_f32_e32 v102, 0x3eae86e6, v77
	v_fmac_f32_e32 v94, 0xbf955555, v95
	v_fmamk_f32 v93, v93, 0x3d64c772, v17
	v_fma_f32 v71, 0x3f3bfb3b, v99, -v71
	v_fma_f32 v17, 0xbf3bfb3b, v99, -v17
	v_fmamk_f32 v95, v76, 0xbeae86e6, v96
	v_fma_f32 v96, 0xbf5ff5aa, v105, -v96
	v_fmac_f32_e32 v101, 0x3eae86e6, v76
	v_add_f32_e32 v70, v70, v103
	v_add_f32_e32 v16, v16, v103
	v_fmac_f32_e32 v97, 0xbee1c552, v85
	v_fmac_f32_e32 v102, 0xbee1c552, v85
	v_add_f32_e32 v76, v92, v103
	v_add_f32_e32 v71, v71, v94
	;; [unrolled: 1-line block ×3, first 2 shown]
	v_fmac_f32_e32 v98, 0xbee1c552, v85
	v_fmac_f32_e32 v96, 0xbee1c552, v84
	v_fmac_f32_e32 v101, 0xbee1c552, v84
	v_add_f32_e32 v246, v102, v16
	v_sub_f32_e32 v116, v70, v97
	v_add_f32_e32 v113, v97, v70
	v_sub_f32_e32 v102, v16, v102
	v_add_f32_e32 v16, v0, v86
	v_add_f32_e32 v70, v74, v4
	;; [unrolled: 1-line block ×3, first 2 shown]
	v_fmac_f32_e32 v95, 0xbee1c552, v84
	v_add_f32_e32 v254, v76, v98
	v_sub_f32_e32 v247, v17, v101
	v_add_f32_e32 v117, v96, v71
	v_sub_f32_e32 v114, v71, v96
	;; [unrolled: 2-line block ×3, first 2 shown]
	v_add_f32_e32 v17, v1, v87
	v_add_f32_e32 v71, v75, v5
	v_sub_f32_e32 v4, v74, v4
	v_add_f32_e32 v74, v8, v78
	v_sub_f32_e32 v8, v78, v8
	;; [unrolled: 2-line block ×4, first 2 shown]
	v_sub_f32_e32 v5, v75, v5
	v_add_f32_e32 v75, v9, v79
	v_sub_f32_e32 v9, v79, v9
	v_add_f32_e32 v77, v71, v17
	v_sub_f32_e32 v78, v70, v16
	v_sub_f32_e32 v16, v16, v74
	;; [unrolled: 1-line block ×3, first 2 shown]
	v_add_f32_e32 v84, v8, v4
	v_add_f32_e32 v74, v74, v76
	v_sub_f32_e32 v1, v1, v87
	v_sub_f32_e32 v79, v71, v17
	;; [unrolled: 1-line block ×4, first 2 shown]
	v_add_f32_e32 v85, v9, v5
	v_sub_f32_e32 v86, v8, v4
	v_sub_f32_e32 v8, v0, v8
	;; [unrolled: 1-line block ×3, first 2 shown]
	v_add_f32_e32 v75, v75, v77
	v_add_f32_e32 v76, v84, v0
	;; [unrolled: 1-line block ×3, first 2 shown]
	v_sub_f32_e32 v87, v9, v5
	v_sub_f32_e32 v9, v1, v9
	;; [unrolled: 1-line block ×3, first 2 shown]
	v_add_f32_e32 v77, v85, v1
	v_add_f32_e32 v1, v75, v19
	v_mov_b32_e32 v92, v0
	v_mul_f32_e32 v16, 0x3f4a47b2, v16
	v_mul_f32_e32 v17, 0x3f4a47b2, v17
	;; [unrolled: 1-line block ×7, first 2 shown]
	v_fmac_f32_e32 v92, 0xbf955555, v74
	v_mov_b32_e32 v74, v1
	v_fmamk_f32 v70, v70, 0x3d64c772, v16
	v_fmamk_f32 v71, v71, 0x3d64c772, v17
	v_fma_f32 v18, 0x3f3bfb3b, v78, -v18
	v_fma_f32 v19, 0x3f3bfb3b, v79, -v19
	v_fmac_f32_e32 v74, 0xbf955555, v75
	v_fma_f32 v16, 0xbf3bfb3b, v78, -v16
	v_fma_f32 v17, 0xbf3bfb3b, v79, -v17
	v_fmamk_f32 v78, v9, 0xbeae86e6, v85
	v_fmac_f32_e32 v86, 0x3eae86e6, v8
	v_fmamk_f32 v75, v8, 0xbeae86e6, v84
	v_add_f32_e32 v70, v70, v92
	v_add_f32_e32 v71, v71, v74
	;; [unrolled: 1-line block ×4, first 2 shown]
	v_fmac_f32_e32 v78, 0xbee1c552, v77
	v_fmac_f32_e32 v86, 0xbee1c552, v76
	v_mul_f32_e32 v87, 0x3f5ff5aa, v5
	v_fma_f32 v79, 0xbf5ff5aa, v4, -v84
	v_fma_f32 v84, 0xbf5ff5aa, v5, -v85
	v_fmac_f32_e32 v75, 0xbee1c552, v76
	v_add_f32_e32 v8, v70, v78
	v_sub_f32_e32 v5, v74, v86
	v_add_f32_e32 v243, v86, v74
	v_sub_f32_e32 v74, v70, v78
	;; [unrolled: 2-line block ×3, first 2 shown]
	v_add_f32_e32 v12, v20, v6
	v_fmac_f32_e32 v87, 0x3eae86e6, v9
	v_sub_f32_e32 v9, v71, v75
	v_add_f32_e32 v75, v75, v71
	v_add_f32_e32 v71, v3, v13
	v_sub_f32_e32 v3, v3, v13
	v_add_f32_e32 v13, v21, v7
	v_sub_f32_e32 v6, v20, v6
	;; [unrolled: 2-line block ×3, first 2 shown]
	v_add_f32_e32 v24, v12, v70
	v_fmac_f32_e32 v79, 0xbee1c552, v76
	v_sub_f32_e32 v7, v21, v7
	v_add_f32_e32 v21, v11, v25
	v_sub_f32_e32 v11, v25, v11
	v_add_f32_e32 v25, v13, v71
	v_sub_f32_e32 v76, v12, v70
	v_sub_f32_e32 v70, v70, v20
	;; [unrolled: 1-line block ×3, first 2 shown]
	v_add_f32_e32 v20, v20, v24
	v_add_f32_e32 v85, v16, v92
	v_fmac_f32_e32 v84, 0xbee1c552, v77
	v_fmac_f32_e32 v87, 0xbee1c552, v77
	v_sub_f32_e32 v77, v13, v71
	v_sub_f32_e32 v71, v71, v21
	;; [unrolled: 1-line block ×3, first 2 shown]
	v_add_f32_e32 v21, v21, v25
	v_add_f32_e32 v56, v20, v56
	;; [unrolled: 1-line block ×5, first 2 shown]
	v_sub_f32_e32 v19, v19, v79
	v_sub_f32_e32 v242, v85, v87
	v_add_f32_e32 v79, v11, v7
	v_sub_f32_e32 v85, v11, v7
	v_sub_f32_e32 v7, v7, v3
	v_add_f32_e32 v57, v21, v57
	v_mov_b32_e32 v86, v56
	v_sub_f32_e32 v16, v18, v84
	v_add_f32_e32 v18, v84, v18
	v_add_f32_e32 v78, v10, v6
	v_sub_f32_e32 v84, v10, v6
	v_sub_f32_e32 v11, v3, v11
	;; [unrolled: 1-line block ×3, first 2 shown]
	v_add_f32_e32 v3, v79, v3
	v_mul_f32_e32 v24, 0x3f4a47b2, v70
	v_mul_f32_e32 v25, 0x3f4a47b2, v71
	;; [unrolled: 1-line block ×6, first 2 shown]
	v_fmac_f32_e32 v86, 0xbf955555, v20
	v_mov_b32_e32 v20, v57
	v_sub_f32_e32 v10, v2, v10
	v_add_f32_e32 v2, v78, v2
	v_mul_f32_e32 v78, 0x3f08b237, v84
	v_mul_f32_e32 v84, 0x3f5ff5aa, v6
	v_fmac_f32_e32 v20, 0xbf955555, v21
	v_fmamk_f32 v12, v12, 0x3d64c772, v24
	v_fmamk_f32 v13, v13, 0x3d64c772, v25
	v_fma_f32 v21, 0x3f3bfb3b, v76, -v70
	v_fma_f32 v70, 0x3f3bfb3b, v77, -v71
	;; [unrolled: 1-line block ×3, first 2 shown]
	v_fmac_f32_e32 v85, 0x3eae86e6, v11
	v_fmamk_f32 v71, v10, 0xbeae86e6, v78
	v_fma_f32 v6, 0xbf5ff5aa, v6, -v78
	v_fma_f32 v7, 0xbf5ff5aa, v7, -v79
	v_fmac_f32_e32 v84, 0x3eae86e6, v10
	v_add_f32_e32 v78, v13, v20
	v_add_f32_e32 v13, v70, v20
	;; [unrolled: 1-line block ×3, first 2 shown]
	v_fmac_f32_e32 v85, 0xbee1c552, v3
	v_fma_f32 v25, 0xbf3bfb3b, v77, -v25
	v_fmamk_f32 v76, v11, 0xbeae86e6, v79
	v_add_f32_e32 v77, v12, v86
	v_add_f32_e32 v12, v21, v86
	v_fmac_f32_e32 v71, 0xbee1c552, v2
	v_fmac_f32_e32 v6, 0xbee1c552, v2
	;; [unrolled: 1-line block ×4, first 2 shown]
	v_add_f32_e32 v24, v85, v70
	v_sub_f32_e32 v2, v70, v85
	v_add_f32_e32 v70, v28, v14
	v_sub_f32_e32 v14, v28, v14
	v_add_f32_e32 v28, v22, v32
	v_fmac_f32_e32 v76, 0xbee1c552, v3
	v_sub_f32_e32 v21, v78, v71
	v_sub_f32_e32 v10, v12, v7
	v_add_f32_e32 v12, v7, v12
	v_add_f32_e32 v7, v71, v78
	;; [unrolled: 1-line block ×3, first 2 shown]
	v_sub_f32_e32 v15, v29, v15
	v_add_f32_e32 v29, v23, v33
	v_sub_f32_e32 v22, v22, v32
	v_add_f32_e32 v32, v36, v26
	;; [unrolled: 2-line block ×3, first 2 shown]
	v_add_f32_e32 v79, v25, v20
	v_add_f32_e32 v20, v77, v76
	;; [unrolled: 1-line block ×3, first 2 shown]
	v_sub_f32_e32 v13, v13, v6
	v_sub_f32_e32 v6, v77, v76
	;; [unrolled: 1-line block ×3, first 2 shown]
	v_add_f32_e32 v33, v37, v27
	v_sub_f32_e32 v27, v27, v37
	v_add_f32_e32 v37, v29, v71
	v_sub_f32_e32 v76, v28, v70
	v_sub_f32_e32 v70, v70, v32
	;; [unrolled: 1-line block ×3, first 2 shown]
	v_add_f32_e32 v32, v32, v36
	v_sub_f32_e32 v77, v29, v71
	v_sub_f32_e32 v71, v71, v33
	;; [unrolled: 1-line block ×3, first 2 shown]
	v_add_f32_e32 v33, v33, v37
	v_add_f32_e32 v58, v32, v58
	v_sub_f32_e32 v25, v79, v84
	v_add_f32_e32 v3, v84, v79
	v_add_f32_e32 v79, v27, v23
	v_sub_f32_e32 v85, v27, v23
	v_sub_f32_e32 v23, v23, v15
	v_add_f32_e32 v59, v33, v59
	v_mov_b32_e32 v86, v58
	v_add_f32_e32 v78, v26, v22
	v_sub_f32_e32 v84, v26, v22
	v_sub_f32_e32 v27, v15, v27
	;; [unrolled: 1-line block ×3, first 2 shown]
	v_add_f32_e32 v15, v79, v15
	v_mul_f32_e32 v36, 0x3f4a47b2, v70
	v_mul_f32_e32 v37, 0x3f4a47b2, v71
	;; [unrolled: 1-line block ×6, first 2 shown]
	v_fmac_f32_e32 v86, 0xbf955555, v32
	v_mov_b32_e32 v32, v59
	v_sub_f32_e32 v26, v14, v26
	v_add_f32_e32 v14, v78, v14
	v_mul_f32_e32 v78, 0x3f08b237, v84
	v_mul_f32_e32 v84, 0x3f5ff5aa, v22
	v_fmac_f32_e32 v32, 0xbf955555, v33
	v_fmamk_f32 v28, v28, 0x3d64c772, v36
	v_fmamk_f32 v29, v29, 0x3d64c772, v37
	v_fma_f32 v33, 0x3f3bfb3b, v76, -v70
	v_fma_f32 v70, 0x3f3bfb3b, v77, -v71
	;; [unrolled: 1-line block ×3, first 2 shown]
	v_fmac_f32_e32 v85, 0x3eae86e6, v27
	v_fmamk_f32 v71, v26, 0xbeae86e6, v78
	v_fma_f32 v22, 0xbf5ff5aa, v22, -v78
	v_fma_f32 v23, 0xbf5ff5aa, v23, -v79
	v_fmac_f32_e32 v84, 0x3eae86e6, v26
	v_add_f32_e32 v78, v29, v32
	v_add_f32_e32 v29, v70, v32
	;; [unrolled: 1-line block ×3, first 2 shown]
	v_fmac_f32_e32 v85, 0xbee1c552, v15
	v_fma_f32 v37, 0xbf3bfb3b, v77, -v37
	v_fmamk_f32 v76, v27, 0xbeae86e6, v79
	v_add_f32_e32 v77, v28, v86
	v_add_f32_e32 v28, v33, v86
	v_fmac_f32_e32 v71, 0xbee1c552, v14
	v_fmac_f32_e32 v22, 0xbee1c552, v14
	;; [unrolled: 1-line block ×4, first 2 shown]
	v_add_f32_e32 v36, v85, v70
	v_sub_f32_e32 v14, v70, v85
	v_add_f32_e32 v70, v30, v40
	v_sub_f32_e32 v30, v30, v40
	v_add_f32_e32 v40, v44, v34
	v_fmac_f32_e32 v76, 0xbee1c552, v15
	v_sub_f32_e32 v33, v78, v71
	v_sub_f32_e32 v26, v28, v23
	v_add_f32_e32 v28, v23, v28
	v_add_f32_e32 v23, v71, v78
	;; [unrolled: 1-line block ×3, first 2 shown]
	v_sub_f32_e32 v31, v31, v41
	v_add_f32_e32 v41, v45, v35
	v_sub_f32_e32 v34, v44, v34
	v_add_f32_e32 v44, v38, v48
	v_sub_f32_e32 v38, v48, v38
	v_add_f32_e32 v48, v40, v70
	v_add_f32_e32 v79, v37, v32
	v_add_f32_e32 v32, v77, v76
	v_add_f32_e32 v27, v22, v29
	v_sub_f32_e32 v29, v29, v22
	v_sub_f32_e32 v22, v77, v76
	;; [unrolled: 1-line block ×3, first 2 shown]
	v_add_f32_e32 v45, v39, v49
	v_sub_f32_e32 v39, v49, v39
	v_add_f32_e32 v49, v41, v71
	v_sub_f32_e32 v76, v40, v70
	v_sub_f32_e32 v70, v70, v44
	;; [unrolled: 1-line block ×3, first 2 shown]
	v_add_f32_e32 v44, v44, v48
	v_sub_f32_e32 v77, v41, v71
	v_sub_f32_e32 v71, v71, v45
	;; [unrolled: 1-line block ×3, first 2 shown]
	v_add_f32_e32 v45, v45, v49
	v_add_f32_e32 v64, v44, v64
	v_sub_f32_e32 v37, v79, v84
	v_add_f32_e32 v15, v84, v79
	v_add_f32_e32 v79, v39, v35
	v_sub_f32_e32 v85, v39, v35
	v_sub_f32_e32 v35, v35, v31
	v_add_f32_e32 v65, v45, v65
	v_mov_b32_e32 v86, v64
	v_add_f32_e32 v78, v38, v34
	v_sub_f32_e32 v84, v38, v34
	v_sub_f32_e32 v39, v31, v39
	;; [unrolled: 1-line block ×3, first 2 shown]
	v_add_f32_e32 v31, v79, v31
	v_mul_f32_e32 v48, 0x3f4a47b2, v70
	v_mul_f32_e32 v49, 0x3f4a47b2, v71
	;; [unrolled: 1-line block ×6, first 2 shown]
	v_fmac_f32_e32 v86, 0xbf955555, v44
	v_mov_b32_e32 v44, v65
	v_sub_f32_e32 v38, v30, v38
	v_add_f32_e32 v30, v78, v30
	v_mul_f32_e32 v78, 0x3f08b237, v84
	v_mul_f32_e32 v84, 0x3f5ff5aa, v34
	v_fmac_f32_e32 v44, 0xbf955555, v45
	v_fmamk_f32 v40, v40, 0x3d64c772, v48
	v_fmamk_f32 v41, v41, 0x3d64c772, v49
	v_fma_f32 v45, 0x3f3bfb3b, v76, -v70
	v_fma_f32 v70, 0x3f3bfb3b, v77, -v71
	v_fma_f32 v48, 0xbf3bfb3b, v76, -v48
	v_fmac_f32_e32 v85, 0x3eae86e6, v39
	v_fmamk_f32 v71, v38, 0xbeae86e6, v78
	v_fmamk_f32 v76, v39, 0xbeae86e6, v79
	v_fma_f32 v34, 0xbf5ff5aa, v34, -v78
	v_fma_f32 v35, 0xbf5ff5aa, v35, -v79
	v_fmac_f32_e32 v84, 0x3eae86e6, v38
	v_add_f32_e32 v78, v41, v44
	v_add_f32_e32 v41, v70, v44
	;; [unrolled: 1-line block ×3, first 2 shown]
	v_fmac_f32_e32 v85, 0xbee1c552, v31
	v_fma_f32 v49, 0xbf3bfb3b, v77, -v49
	v_add_f32_e32 v77, v40, v86
	v_add_f32_e32 v40, v45, v86
	v_fmac_f32_e32 v71, 0xbee1c552, v30
	v_fmac_f32_e32 v76, 0xbee1c552, v31
	;; [unrolled: 1-line block ×5, first 2 shown]
	v_add_f32_e32 v48, v85, v70
	v_sub_f32_e32 v30, v70, v85
	v_add_f32_e32 v70, v52, v42
	v_sub_f32_e32 v42, v52, v42
	v_add_f32_e32 v52, v46, v60
	v_add_f32_e32 v79, v49, v44
	;; [unrolled: 1-line block ×3, first 2 shown]
	v_sub_f32_e32 v45, v78, v71
	v_sub_f32_e32 v38, v40, v35
	v_add_f32_e32 v39, v34, v41
	v_add_f32_e32 v40, v35, v40
	v_sub_f32_e32 v41, v41, v34
	v_sub_f32_e32 v34, v77, v76
	v_add_f32_e32 v35, v71, v78
	v_add_f32_e32 v71, v53, v43
	v_sub_f32_e32 v43, v53, v43
	v_add_f32_e32 v53, v47, v61
	v_sub_f32_e32 v46, v46, v60
	v_add_f32_e32 v60, v248, v50
	v_add_f32_e32 v76, v52, v70
	v_sub_f32_e32 v47, v47, v61
	v_add_f32_e32 v61, v249, v51
	v_sub_f32_e32 v50, v50, v248
	;; [unrolled: 2-line block ×3, first 2 shown]
	v_sub_f32_e32 v70, v70, v60
	v_sub_f32_e32 v52, v60, v52
	v_add_f32_e32 v60, v60, v76
	v_sub_f32_e32 v49, v79, v84
	v_add_f32_e32 v31, v84, v79
	v_sub_f32_e32 v51, v51, v249
	v_sub_f32_e32 v79, v53, v71
	v_sub_f32_e32 v71, v71, v61
	v_sub_f32_e32 v53, v61, v53
	v_sub_f32_e32 v86, v50, v46
	v_add_f32_e32 v61, v61, v77
	v_add_f32_e32 v248, v60, v66
	;; [unrolled: 1-line block ×3, first 2 shown]
	v_sub_f32_e32 v87, v51, v47
	v_sub_f32_e32 v47, v47, v43
	v_add_f32_e32 v249, v61, v67
	v_mul_f32_e32 v76, 0x3f08b237, v86
	v_mov_b32_e32 v86, v248
	v_add_f32_e32 v84, v50, v46
	v_sub_f32_e32 v51, v43, v51
	v_sub_f32_e32 v46, v46, v42
	v_add_f32_e32 v43, v85, v43
	v_mul_f32_e32 v66, 0x3f4a47b2, v70
	v_mul_f32_e32 v67, 0x3f4a47b2, v71
	;; [unrolled: 1-line block ×5, first 2 shown]
	v_fmac_f32_e32 v86, 0xbf955555, v60
	v_mov_b32_e32 v60, v249
	v_sub_f32_e32 v50, v42, v50
	v_add_f32_e32 v42, v84, v42
	v_mul_f32_e32 v77, 0x3f08b237, v87
	v_mul_f32_e32 v84, 0x3f5ff5aa, v46
	v_fmac_f32_e32 v60, 0xbf955555, v61
	v_fmamk_f32 v52, v52, 0x3d64c772, v66
	v_fmamk_f32 v53, v53, 0x3d64c772, v67
	v_fma_f32 v61, 0x3f3bfb3b, v78, -v70
	v_fma_f32 v70, 0x3f3bfb3b, v79, -v71
	;; [unrolled: 1-line block ×3, first 2 shown]
	v_fmac_f32_e32 v85, 0x3eae86e6, v51
	v_fma_f32 v67, 0xbf3bfb3b, v79, -v67
	v_fmamk_f32 v71, v50, 0xbeae86e6, v76
	v_fmamk_f32 v78, v51, 0xbeae86e6, v77
	v_fma_f32 v46, 0xbf5ff5aa, v46, -v76
	v_fma_f32 v47, 0xbf5ff5aa, v47, -v77
	v_fmac_f32_e32 v84, 0x3eae86e6, v50
	v_add_f32_e32 v77, v53, v60
	v_add_f32_e32 v53, v70, v60
	;; [unrolled: 1-line block ×3, first 2 shown]
	v_fmac_f32_e32 v85, 0xbee1c552, v43
	v_add_f32_e32 v76, v52, v86
	v_add_f32_e32 v52, v61, v86
	;; [unrolled: 1-line block ×3, first 2 shown]
	v_fmac_f32_e32 v71, 0xbee1c552, v42
	v_fmac_f32_e32 v78, 0xbee1c552, v43
	;; [unrolled: 1-line block ×5, first 2 shown]
	v_add_f32_e32 v66, v85, v70
	v_sub_f32_e32 v42, v70, v85
	v_add_f32_e32 v70, v54, v68
	v_sub_f32_e32 v54, v54, v68
	v_add_f32_e32 v68, v252, v62
	v_add_f32_e32 v60, v76, v78
	v_sub_f32_e32 v61, v77, v71
	v_sub_f32_e32 v67, v79, v84
	;; [unrolled: 1-line block ×3, first 2 shown]
	v_add_f32_e32 v51, v46, v53
	v_add_f32_e32 v52, v47, v52
	v_sub_f32_e32 v53, v53, v46
	v_add_f32_e32 v43, v84, v79
	v_sub_f32_e32 v46, v76, v78
	v_add_f32_e32 v47, v71, v77
	v_add_f32_e32 v71, v55, v69
	v_sub_f32_e32 v55, v55, v69
	v_add_f32_e32 v69, v253, v63
	v_sub_f32_e32 v62, v252, v62
	;; [unrolled: 2-line block ×6, first 2 shown]
	v_sub_f32_e32 v70, v70, v76
	v_sub_f32_e32 v68, v76, v68
	v_add_f32_e32 v92, v78, v62
	v_add_f32_e32 v76, v76, v84
	v_sub_f32_e32 v87, v69, v71
	v_sub_f32_e32 v71, v71, v77
	;; [unrolled: 1-line block ×3, first 2 shown]
	v_add_f32_e32 v93, v79, v63
	v_sub_f32_e32 v94, v78, v62
	v_sub_f32_e32 v78, v54, v78
	;; [unrolled: 1-line block ×3, first 2 shown]
	v_add_f32_e32 v77, v77, v85
	v_add_f32_e32 v54, v92, v54
	;; [unrolled: 1-line block ×3, first 2 shown]
	v_sub_f32_e32 v95, v79, v63
	v_sub_f32_e32 v79, v55, v79
	;; [unrolled: 1-line block ×3, first 2 shown]
	v_add_f32_e32 v55, v93, v55
	v_add_f32_e32 v93, v77, v241
	v_mov_b32_e32 v98, v92
	v_mul_f32_e32 v71, 0x3f4a47b2, v71
	v_mul_f32_e32 v84, 0x3d64c772, v68
	;; [unrolled: 1-line block ×4, first 2 shown]
	v_fmac_f32_e32 v98, 0xbf955555, v76
	v_mov_b32_e32 v76, v93
	v_mul_f32_e32 v94, 0x3f08b237, v94
	v_mul_f32_e32 v95, 0x3f08b237, v95
	;; [unrolled: 1-line block ×3, first 2 shown]
	v_fmamk_f32 v69, v69, 0x3d64c772, v71
	v_fmac_f32_e32 v76, 0xbf955555, v77
	v_fma_f32 v77, 0x3f3bfb3b, v86, -v84
	v_fma_f32 v84, 0x3f3bfb3b, v87, -v85
	;; [unrolled: 1-line block ×3, first 2 shown]
	v_fmac_f32_e32 v96, 0x3eae86e6, v78
	v_fmamk_f32 v99, v78, 0xbeae86e6, v94
	v_fmamk_f32 v101, v79, 0xbeae86e6, v95
	v_fma_f32 v62, 0xbf5ff5aa, v62, -v94
	v_fma_f32 v63, 0xbf5ff5aa, v63, -v95
	v_fmac_f32_e32 v97, 0x3eae86e6, v79
	v_add_f32_e32 v79, v69, v76
	v_add_f32_e32 v94, v84, v76
	;; [unrolled: 1-line block ×3, first 2 shown]
	v_fmac_f32_e32 v96, 0xbee1c552, v54
	v_fmac_f32_e32 v101, 0xbee1c552, v55
	;; [unrolled: 1-line block ×4, first 2 shown]
	v_mul_f32_e32 v70, 0x3f4a47b2, v70
	v_sub_f32_e32 v87, v76, v96
	v_add_f32_e32 v55, v96, v76
	buffer_load_dword v76, off, s[16:19], 0 offset:916 ; 4-byte Folded Reload
	s_waitcnt vmcnt(0)
	ds_write_b64 v76, v[72:73]
	ds_write2_b64 v76, v[254:255], v[246:247] offset0:1 offset1:2
	ds_write2_b64 v76, v[116:117], v[113:114] offset0:3 offset1:4
	ds_write2_b64 v76, v[102:103], v[104:105] offset0:5 offset1:6
	buffer_load_dword v72, off, s[16:19], 0 offset:924 ; 4-byte Folded Reload
	s_waitcnt vmcnt(0)
	ds_write_b64 v72, v[0:1]
	ds_write2_b64 v72, v[8:9], v[4:5] offset0:1 offset1:2
	ds_write2_b64 v72, v[16:17], v[18:19] offset0:3 offset1:4
	ds_write2_b64 v72, v[242:243], v[74:75] offset0:5 offset1:6
	;; [unrolled: 6-line block ×6, first 2 shown]
	buffer_load_dword v0, off, s[16:19], 0 offset:692 ; 4-byte Folded Reload
	v_fmamk_f32 v68, v68, 0x3d64c772, v70
	v_fma_f32 v70, 0xbf3bfb3b, v86, -v70
	v_fmac_f32_e32 v99, 0xbee1c552, v54
	v_add_f32_e32 v77, v77, v98
	v_fmac_f32_e32 v62, 0xbee1c552, v54
	v_add_f32_e32 v78, v68, v98
	v_add_f32_e32 v95, v70, v98
	v_sub_f32_e32 v85, v79, v99
	v_sub_f32_e32 v68, v77, v63
	v_add_f32_e32 v69, v62, v94
	v_add_f32_e32 v84, v78, v101
	v_add_f32_e32 v86, v97, v95
	v_add_f32_e32 v70, v63, v77
	v_sub_f32_e32 v71, v94, v62
	v_mov_b32_e32 v7, v119
	v_sub_f32_e32 v54, v95, v97
	v_sub_f32_e32 v62, v78, v101
	v_add_f32_e32 v63, v99, v79
	s_waitcnt vmcnt(0)
	ds_write_b64 v0, v[92:93]
	ds_write2_b64 v0, v[84:85], v[86:87] offset0:1 offset1:2
	ds_write2_b64 v0, v[68:69], v[70:71] offset0:3 offset1:4
	;; [unrolled: 1-line block ×3, first 2 shown]
	s_waitcnt lgkmcnt(0)
	s_barrier
	buffer_gl0_inv
	ds_read2_b64 v[0:3], v100 offset1:49
	ds_read2_b64 v[240:243], v119 offset0:38 offset1:87
	v_mov_b32_e32 v119, v112
	ds_read2_b64 v[14:17], v112 offset0:174 offset1:223
	ds_read2_b64 v[60:63], v135 offset0:84 offset1:133
	;; [unrolled: 1-line block ×22, first 2 shown]
	ds_read_b64 v[4:5], v100 offset:18816
	s_clause 0x3
	buffer_load_dword v18, off, s[16:19], 0 offset:616
	buffer_load_dword v19, off, s[16:19], 0 offset:620
	;; [unrolled: 1-line block ×4, first 2 shown]
	v_mov_b32_e32 v135, v130
	s_waitcnt lgkmcnt(6)
	v_mul_f32_e32 v58, v211, v93
	s_waitcnt lgkmcnt(4)
	v_mul_f32_e32 v128, v223, v109
	v_fmac_f32_e32 v58, v210, v92
	s_waitcnt lgkmcnt(0)
	v_mul_f32_e32 v130, v155, v5
	v_fmac_f32_e32 v128, v222, v108
	v_fmac_f32_e32 v130, v154, v4
	v_mul_f32_e32 v4, v155, v4
	s_waitcnt vmcnt(2)
	v_mul_f32_e32 v6, v19, v242
	v_mul_f32_e32 v12, v19, v243
	s_waitcnt vmcnt(0)
	v_mul_f32_e32 v10, v21, v15
	v_fma_f32 v13, v18, v243, -v6
	v_mul_f32_e32 v6, v21, v14
	v_fmac_f32_e32 v12, v18, v242
	v_fmac_f32_e32 v10, v20, v14
	v_fma_f32 v11, v20, v15, -v6
	s_clause 0x3
	buffer_load_dword v18, off, s[16:19], 0 offset:600
	buffer_load_dword v19, off, s[16:19], 0 offset:604
	;; [unrolled: 1-line block ×4, first 2 shown]
	s_waitcnt vmcnt(2)
	v_mul_f32_e32 v6, v19, v63
	v_mul_f32_e32 v7, v19, v62
	s_waitcnt vmcnt(0)
	v_mul_f32_e32 v8, v21, v23
	v_mul_f32_e32 v9, v21, v22
	v_fmac_f32_e32 v6, v18, v62
	v_fma_f32 v7, v18, v63, -v7
	v_fmac_f32_e32 v8, v20, v22
	v_fma_f32 v9, v20, v23, -v9
	s_clause 0x7
	buffer_load_dword v18, off, s[16:19], 0 offset:632
	buffer_load_dword v19, off, s[16:19], 0 offset:636
	;; [unrolled: 1-line block ×8, first 2 shown]
	v_mul_f32_e32 v62, v209, v71
	v_fmac_f32_e32 v62, v208, v70
	s_waitcnt vmcnt(6)
	v_mul_f32_e32 v14, v19, v75
	v_mul_f32_e32 v15, v19, v74
	s_waitcnt vmcnt(2)
	v_mul_f32_e32 v22, v102, v34
	v_mul_f32_e32 v40, v21, v27
	v_fmac_f32_e32 v14, v18, v74
	v_fma_f32 v15, v18, v75, -v15
	v_mul_f32_e32 v18, v21, v26
	v_fmac_f32_e32 v22, v101, v33
	v_fmac_f32_e32 v40, v20, v26
	v_mul_f32_e32 v74, v231, v95
	v_fma_f32 v41, v20, v27, -v18
	v_mul_f32_e32 v18, v102, v33
	s_clause 0x3
	buffer_load_dword v30, off, s[16:19], 0 offset:796
	buffer_load_dword v31, off, s[16:19], 0 offset:800
	;; [unrolled: 1-line block ×4, first 2 shown]
	s_waitcnt vmcnt(4)
	v_mul_f32_e32 v20, v104, v17
	v_fmac_f32_e32 v74, v230, v94
	v_mul_f32_e32 v102, v153, v255
	v_fma_f32 v23, v101, v34, -v18
	v_fmac_f32_e32 v20, v103, v16
	v_mul_f32_e32 v16, v104, v16
	v_mul_f32_e32 v104, v229, v111
	v_fmac_f32_e32 v102, v152, v254
	v_fma_f32 v21, v103, v17, -v16
	v_fmac_f32_e32 v104, v228, v110
	s_waitcnt vmcnt(0)
	v_mul_f32_e32 v18, v33, v25
	v_mul_f32_e32 v19, v33, v24
	;; [unrolled: 1-line block ×4, first 2 shown]
	v_fmac_f32_e32 v18, v32, v24
	v_fma_f32 v19, v32, v25, -v19
	s_clause 0x3
	buffer_load_dword v31, off, s[16:19], 0 offset:828
	buffer_load_dword v32, off, s[16:19], 0 offset:832
	;; [unrolled: 1-line block ×4, first 2 shown]
	v_fmac_f32_e32 v16, v30, v42
	v_fma_f32 v17, v30, v43, -v17
	v_mul_f32_e32 v30, v143, v51
	v_fmac_f32_e32 v30, v142, v50
	s_waitcnt vmcnt(2)
	v_mul_f32_e32 v24, v32, v47
	v_mul_f32_e32 v25, v32, v46
	s_waitcnt vmcnt(0)
	v_mul_f32_e32 v32, v34, v29
	v_mul_f32_e32 v26, v34, v28
	;; [unrolled: 1-line block ×3, first 2 shown]
	v_fmac_f32_e32 v24, v31, v46
	v_fma_f32 v25, v31, v47, -v25
	v_fmac_f32_e32 v32, v33, v28
	v_fma_f32 v33, v33, v29, -v26
	v_mul_f32_e32 v26, v141, v35
	v_fmac_f32_e32 v34, v140, v35
	v_mul_f32_e32 v46, v175, v53
	v_fma_f32 v35, v140, v36, -v26
	s_clause 0x3
	buffer_load_dword v36, off, s[16:19], 0 offset:900
	buffer_load_dword v37, off, s[16:19], 0 offset:904
	;; [unrolled: 1-line block ×4, first 2 shown]
	v_mul_f32_e32 v26, v143, v50
	v_fmac_f32_e32 v46, v174, v52
	v_mul_f32_e32 v50, v157, v85
	v_fma_f32 v31, v142, v51, -v26
	v_mul_f32_e32 v51, v157, v84
	v_fmac_f32_e32 v50, v156, v84
	v_mul_f32_e32 v84, v233, v117
	v_fma_f32 v51, v156, v85, -v51
	v_fmac_f32_e32 v84, v232, v116
	s_waitcnt vmcnt(2)
	v_mul_f32_e32 v26, v37, v45
	v_mul_f32_e32 v27, v37, v44
	s_waitcnt vmcnt(0)
	v_mul_f32_e32 v28, v39, v55
	v_mul_f32_e32 v29, v39, v54
	v_fmac_f32_e32 v26, v36, v44
	v_fma_f32 v27, v36, v45, -v27
	s_clause 0x3
	buffer_load_dword v42, off, s[16:19], 0 offset:884
	buffer_load_dword v43, off, s[16:19], 0 offset:888
	;; [unrolled: 1-line block ×4, first 2 shown]
	v_fmac_f32_e32 v28, v38, v54
	v_mul_f32_e32 v54, v209, v70
	v_fma_f32 v29, v38, v55, -v29
	v_mul_f32_e32 v55, v201, v78
	v_mul_f32_e32 v70, v227, v99
	s_waitcnt vmcnt(0)
	v_fma_f32 v63, v208, v71, -v54
	v_mul_f32_e32 v54, v211, v92
	v_mul_f32_e32 v92, v239, v61
	v_fma_f32 v55, v200, v79, -v55
	v_mul_f32_e32 v71, v227, v98
	v_fmac_f32_e32 v70, v226, v98
	v_fma_f32 v59, v210, v93, -v54
	v_fmac_f32_e32 v92, v238, v60
	v_mul_f32_e32 v60, v239, v60
	v_mul_f32_e32 v54, v201, v79
	v_fma_f32 v71, v226, v99, -v71
	s_barrier
	buffer_gl0_inv
	v_fma_f32 v93, v238, v61, -v60
	v_mul_f32_e32 v60, v233, v116
	v_fmac_f32_e32 v54, v200, v78
	v_add_nc_u32_e32 v226, 0x2400, v100
	v_fma_f32 v85, v232, v117, -v60
	v_mul_f32_e32 v60, v235, v72
	v_mul_f32_e32 v36, v43, v49
	;; [unrolled: 1-line block ×6, first 2 shown]
	v_fmac_f32_e32 v36, v42, v48
	v_fma_f32 v37, v42, v49, -v37
	v_mul_f32_e32 v42, v173, v68
	v_mul_f32_e32 v48, v173, v69
	v_fmac_f32_e32 v38, v44, v64
	v_mul_f32_e32 v64, v197, v87
	v_fma_f32 v39, v44, v65, -v39
	v_fma_f32 v49, v172, v69, -v42
	v_mul_f32_e32 v42, v175, v52
	v_mul_f32_e32 v52, v159, v67
	v_fmac_f32_e32 v48, v172, v68
	v_mul_f32_e32 v68, v229, v110
	v_fmac_f32_e32 v64, v196, v86
	v_fma_f32 v47, v174, v53, -v42
	v_mul_f32_e32 v42, v165, v77
	v_mul_f32_e32 v53, v159, v66
	v_fmac_f32_e32 v52, v158, v66
	v_mul_f32_e32 v66, v199, v107
	v_fma_f32 v105, v228, v111, -v68
	v_fmac_f32_e32 v42, v164, v76
	v_fma_f32 v53, v158, v67, -v53
	v_mul_f32_e32 v67, v199, v106
	v_mul_f32_e32 v76, v221, v252
	;; [unrolled: 1-line block ×5, first 2 shown]
	v_fma_f32 v67, v198, v107, -v67
	v_fma_f32 v107, v220, v253, -v76
	v_mul_f32_e32 v76, v223, v108
	v_fma_f32 v75, v230, v95, -v68
	v_fma_f32 v65, v196, v87, -v65
	v_fmac_f32_e32 v86, v234, v72
	v_fma_f32 v87, v234, v73, -v60
	v_fma_f32 v129, v222, v109, -v76
	v_mul_f32_e32 v76, v237, v112
	v_mul_f32_e32 v60, v153, v254
	v_fma_f32 v43, v164, v77, -v43
	v_mul_f32_e32 v44, v167, v57
	v_mul_f32_e32 v45, v167, v56
	v_fma_f32 v95, v236, v113, -v76
	v_fma_f32 v76, v154, v5, -v4
	v_add_f32_e32 v4, v12, v40
	v_sub_f32_e32 v12, v12, v40
	v_add_f32_e32 v40, v10, v14
	v_add_f32_e32 v5, v13, v41
	v_sub_f32_e32 v13, v13, v41
	v_add_f32_e32 v41, v11, v15
	v_sub_f32_e32 v10, v10, v14
	;; [unrolled: 2-line block ×5, first 2 shown]
	v_add_f32_e32 v9, v41, v5
	v_add_f32_e32 v72, v6, v10
	;; [unrolled: 1-line block ×3, first 2 shown]
	v_fma_f32 v103, v152, v255, -v60
	v_sub_f32_e32 v60, v40, v4
	v_sub_f32_e32 v4, v4, v14
	;; [unrolled: 1-line block ×3, first 2 shown]
	v_add_f32_e32 v73, v7, v11
	v_sub_f32_e32 v77, v6, v10
	v_sub_f32_e32 v6, v12, v6
	;; [unrolled: 1-line block ×3, first 2 shown]
	v_add_f32_e32 v9, v15, v9
	v_add_f32_e32 v14, v72, v12
	;; [unrolled: 1-line block ×3, first 2 shown]
	v_sub_f32_e32 v61, v41, v5
	v_sub_f32_e32 v5, v5, v15
	;; [unrolled: 1-line block ×6, first 2 shown]
	v_add_f32_e32 v15, v73, v13
	v_add_f32_e32 v13, v9, v1
	v_mov_b32_e32 v79, v12
	v_mul_f32_e32 v0, 0x3f4a47b2, v4
	v_mul_f32_e32 v1, 0x3f4a47b2, v5
	;; [unrolled: 1-line block ×4, first 2 shown]
	v_fmac_f32_e32 v79, 0xbf955555, v8
	v_mov_b32_e32 v8, v13
	v_mul_f32_e32 v4, 0x3d64c772, v40
	v_mul_f32_e32 v5, 0x3d64c772, v41
	;; [unrolled: 1-line block ×4, first 2 shown]
	v_fmac_f32_e32 v8, 0xbf955555, v9
	v_fmamk_f32 v9, v40, 0x3d64c772, v0
	v_fmamk_f32 v40, v41, 0x3d64c772, v1
	v_fma_f32 v1, 0xbf3bfb3b, v61, -v1
	v_fmamk_f32 v41, v6, 0xbeae86e6, v72
	v_fmac_f32_e32 v77, 0x3eae86e6, v6
	v_fma_f32 v4, 0x3f3bfb3b, v60, -v4
	v_fma_f32 v5, 0x3f3bfb3b, v61, -v5
	;; [unrolled: 1-line block ×3, first 2 shown]
	v_fmamk_f32 v60, v7, 0xbeae86e6, v73
	v_fma_f32 v61, 0xbf5ff5aa, v10, -v72
	v_fma_f32 v72, 0xbf5ff5aa, v11, -v73
	v_fmac_f32_e32 v78, 0x3eae86e6, v7
	v_add_f32_e32 v40, v40, v8
	v_add_f32_e32 v1, v1, v8
	v_fmac_f32_e32 v41, 0xbee1c552, v14
	v_fmac_f32_e32 v77, 0xbee1c552, v14
	v_add_f32_e32 v73, v9, v79
	v_fmac_f32_e32 v60, 0xbee1c552, v15
	v_fmac_f32_e32 v72, 0xbee1c552, v15
	;; [unrolled: 1-line block ×3, first 2 shown]
	v_sub_f32_e32 v15, v40, v41
	v_sub_f32_e32 v9, v1, v77
	v_add_f32_e32 v7, v77, v1
	v_add_f32_e32 v1, v41, v40
	;; [unrolled: 1-line block ×3, first 2 shown]
	v_sub_f32_e32 v22, v22, v32
	v_add_f32_e32 v32, v20, v24
	v_add_f32_e32 v41, v23, v33
	v_sub_f32_e32 v23, v23, v33
	v_add_f32_e32 v33, v21, v25
	v_sub_f32_e32 v20, v20, v24
	;; [unrolled: 2-line block ×3, first 2 shown]
	v_add_f32_e32 v18, v32, v40
	v_add_f32_e32 v0, v0, v79
	v_sub_f32_e32 v21, v21, v25
	v_add_f32_e32 v25, v17, v19
	v_sub_f32_e32 v17, v19, v17
	v_add_f32_e32 v19, v33, v41
	v_add_f32_e32 v18, v24, v18
	;; [unrolled: 1-line block ×4, first 2 shown]
	v_fmac_f32_e32 v61, 0xbee1c552, v14
	v_add_f32_e32 v14, v60, v73
	v_add_f32_e32 v8, v78, v0
	v_sub_f32_e32 v6, v0, v78
	v_sub_f32_e32 v0, v73, v60
	;; [unrolled: 1-line block ×5, first 2 shown]
	v_add_f32_e32 v19, v25, v19
	v_add_f32_e32 v24, v18, v2
	v_sub_f32_e32 v10, v4, v72
	v_add_f32_e32 v11, v61, v5
	v_add_f32_e32 v4, v72, v4
	v_sub_f32_e32 v5, v5, v61
	v_sub_f32_e32 v61, v33, v41
	;; [unrolled: 1-line block ×4, first 2 shown]
	v_add_f32_e32 v72, v16, v20
	v_sub_f32_e32 v77, v16, v20
	v_sub_f32_e32 v20, v20, v22
	v_add_f32_e32 v25, v19, v3
	v_mov_b32_e32 v79, v24
	v_add_f32_e32 v73, v17, v21
	v_sub_f32_e32 v78, v17, v21
	v_sub_f32_e32 v16, v22, v16
	;; [unrolled: 1-line block ×3, first 2 shown]
	v_add_f32_e32 v22, v72, v22
	v_mul_f32_e32 v2, 0x3f4a47b2, v40
	v_mul_f32_e32 v3, 0x3f4a47b2, v41
	;; [unrolled: 1-line block ×6, first 2 shown]
	v_fmac_f32_e32 v79, 0xbf955555, v18
	v_mov_b32_e32 v18, v25
	v_fmac_f32_e32 v44, v166, v56
	v_mul_f32_e32 v56, v203, v97
	v_sub_f32_e32 v17, v23, v17
	v_add_f32_e32 v23, v73, v23
	v_mul_f32_e32 v73, 0x3f08b237, v78
	v_mul_f32_e32 v78, 0x3f5ff5aa, v21
	v_fmac_f32_e32 v18, 0xbf955555, v19
	v_fmamk_f32 v19, v32, 0x3d64c772, v2
	v_fmamk_f32 v32, v33, 0x3d64c772, v3
	v_fma_f32 v33, 0x3f3bfb3b, v60, -v40
	v_fma_f32 v40, 0x3f3bfb3b, v61, -v41
	;; [unrolled: 1-line block ×3, first 2 shown]
	v_fmamk_f32 v41, v16, 0xbeae86e6, v72
	v_fmac_f32_e32 v77, 0x3eae86e6, v16
	v_fma_f32 v45, v166, v57, -v45
	v_fmac_f32_e32 v56, v202, v96
	v_mul_f32_e32 v57, v203, v96
	v_fma_f32 v2, 0xbf3bfb3b, v60, -v2
	v_fmamk_f32 v60, v17, 0xbeae86e6, v73
	v_fma_f32 v61, 0xbf5ff5aa, v20, -v72
	v_fma_f32 v72, 0xbf5ff5aa, v21, -v73
	v_fmac_f32_e32 v78, 0x3eae86e6, v17
	v_add_f32_e32 v96, v32, v18
	v_add_f32_e32 v17, v40, v18
	;; [unrolled: 1-line block ×3, first 2 shown]
	v_fmac_f32_e32 v41, 0xbee1c552, v22
	v_fmac_f32_e32 v77, 0xbee1c552, v22
	v_add_f32_e32 v40, v34, v38
	v_sub_f32_e32 v34, v34, v38
	v_add_f32_e32 v38, v30, v36
	v_add_f32_e32 v73, v19, v79
	;; [unrolled: 1-line block ×4, first 2 shown]
	v_fmac_f32_e32 v60, 0xbee1c552, v23
	v_fmac_f32_e32 v72, 0xbee1c552, v23
	;; [unrolled: 1-line block ×3, first 2 shown]
	v_sub_f32_e32 v33, v96, v41
	v_sub_f32_e32 v21, v3, v77
	v_add_f32_e32 v19, v77, v3
	v_add_f32_e32 v3, v41, v96
	;; [unrolled: 1-line block ×3, first 2 shown]
	v_sub_f32_e32 v35, v35, v39
	v_add_f32_e32 v39, v31, v37
	v_sub_f32_e32 v30, v30, v36
	v_add_f32_e32 v36, v26, v28
	;; [unrolled: 2-line block ×3, first 2 shown]
	v_fmac_f32_e32 v61, 0xbee1c552, v22
	v_add_f32_e32 v32, v60, v73
	v_add_f32_e32 v20, v78, v2
	v_sub_f32_e32 v22, v16, v72
	v_add_f32_e32 v16, v72, v16
	v_sub_f32_e32 v18, v2, v78
	v_sub_f32_e32 v2, v73, v60
	;; [unrolled: 1-line block ×3, first 2 shown]
	v_add_f32_e32 v37, v27, v29
	v_sub_f32_e32 v27, v29, v27
	v_add_f32_e32 v29, v39, v41
	v_sub_f32_e32 v60, v38, v40
	v_sub_f32_e32 v72, v36, v38
	v_add_f32_e32 v38, v26, v30
	v_add_f32_e32 v28, v36, v28
	;; [unrolled: 1-line block ×3, first 2 shown]
	v_sub_f32_e32 v17, v17, v61
	v_sub_f32_e32 v61, v39, v41
	;; [unrolled: 1-line block ×3, first 2 shown]
	v_add_f32_e32 v39, v27, v31
	v_sub_f32_e32 v77, v26, v30
	v_sub_f32_e32 v26, v34, v26
	;; [unrolled: 1-line block ×3, first 2 shown]
	v_add_f32_e32 v29, v37, v29
	v_add_f32_e32 v34, v38, v34
	;; [unrolled: 1-line block ×3, first 2 shown]
	v_fma_f32 v57, v202, v97, -v57
	v_sub_f32_e32 v40, v40, v36
	v_sub_f32_e32 v41, v41, v37
	;; [unrolled: 1-line block ×5, first 2 shown]
	v_add_f32_e32 v35, v39, v35
	v_add_f32_e32 v39, v29, v249
	v_mov_b32_e32 v97, v38
	v_mul_f32_e32 v36, 0x3f4a47b2, v40
	v_mul_f32_e32 v37, 0x3f4a47b2, v41
	;; [unrolled: 1-line block ×4, first 2 shown]
	v_fmac_f32_e32 v97, 0xbf955555, v28
	v_mov_b32_e32 v28, v39
	v_mul_f32_e32 v41, 0x3d64c772, v73
	v_mul_f32_e32 v78, 0x3f08b237, v78
	;; [unrolled: 1-line block ×3, first 2 shown]
	v_fma_f32 v40, 0x3f3bfb3b, v60, -v40
	v_fmac_f32_e32 v28, 0xbf955555, v29
	v_fmamk_f32 v29, v72, 0x3d64c772, v36
	v_fmamk_f32 v72, v73, 0x3d64c772, v37
	v_fma_f32 v36, 0xbf3bfb3b, v60, -v36
	v_fmamk_f32 v60, v26, 0xbeae86e6, v77
	v_mul_f32_e32 v79, 0x3f5ff5aa, v30
	v_fma_f32 v41, 0x3f3bfb3b, v61, -v41
	v_fma_f32 v37, 0xbf3bfb3b, v61, -v37
	v_fmamk_f32 v61, v27, 0xbeae86e6, v78
	v_fmac_f32_e32 v96, 0x3eae86e6, v27
	v_add_f32_e32 v27, v72, v28
	v_fmac_f32_e32 v60, 0xbee1c552, v34
	v_fma_f32 v30, 0xbf5ff5aa, v30, -v77
	v_fma_f32 v31, 0xbf5ff5aa, v31, -v78
	v_fmac_f32_e32 v79, 0x3eae86e6, v26
	v_add_f32_e32 v26, v29, v97
	v_add_f32_e32 v72, v41, v28
	v_fmac_f32_e32 v61, 0xbee1c552, v35
	v_sub_f32_e32 v41, v27, v60
	v_add_f32_e32 v27, v60, v27
	v_add_f32_e32 v60, v48, v52
	v_sub_f32_e32 v48, v48, v52
	v_add_f32_e32 v52, v46, v50
	v_add_f32_e32 v29, v40, v97
	v_add_f32_e32 v77, v37, v28
	v_fmac_f32_e32 v30, 0xbee1c552, v34
	v_fmac_f32_e32 v31, 0xbee1c552, v35
	;; [unrolled: 1-line block ×3, first 2 shown]
	v_add_f32_e32 v40, v61, v26
	v_sub_f32_e32 v26, v26, v61
	v_add_f32_e32 v61, v49, v53
	v_sub_f32_e32 v49, v49, v53
	;; [unrolled: 2-line block ×4, first 2 shown]
	v_add_f32_e32 v44, v52, v60
	v_add_f32_e32 v73, v36, v97
	v_fmac_f32_e32 v96, 0xbee1c552, v35
	v_sub_f32_e32 v35, v77, v79
	v_sub_f32_e32 v36, v29, v31
	v_add_f32_e32 v37, v30, v72
	v_add_f32_e32 v28, v31, v29
	v_sub_f32_e32 v29, v72, v30
	v_add_f32_e32 v31, v79, v77
	v_sub_f32_e32 v47, v47, v51
	v_add_f32_e32 v51, v43, v45
	v_sub_f32_e32 v43, v45, v43
	v_add_f32_e32 v45, v53, v61
	v_sub_f32_e32 v72, v52, v60
	v_sub_f32_e32 v77, v50, v52
	v_add_f32_e32 v52, v42, v46
	v_add_f32_e32 v44, v50, v44
	;; [unrolled: 1-line block ×3, first 2 shown]
	v_sub_f32_e32 v30, v73, v96
	v_sub_f32_e32 v73, v53, v61
	;; [unrolled: 1-line block ×3, first 2 shown]
	v_add_f32_e32 v53, v43, v47
	v_sub_f32_e32 v79, v42, v46
	v_sub_f32_e32 v42, v48, v42
	;; [unrolled: 1-line block ×3, first 2 shown]
	v_add_f32_e32 v45, v51, v45
	v_add_f32_e32 v48, v52, v48
	;; [unrolled: 1-line block ×3, first 2 shown]
	v_sub_f32_e32 v60, v60, v50
	v_sub_f32_e32 v61, v61, v51
	;; [unrolled: 1-line block ×5, first 2 shown]
	v_add_f32_e32 v49, v53, v49
	v_add_f32_e32 v53, v45, v251
	v_mov_b32_e32 v99, v52
	v_mul_f32_e32 v50, 0x3f4a47b2, v60
	v_mul_f32_e32 v51, 0x3f4a47b2, v61
	v_mul_f32_e32 v60, 0x3d64c772, v77
	v_mul_f32_e32 v79, 0x3f08b237, v79
	v_fmac_f32_e32 v99, 0xbf955555, v44
	v_mov_b32_e32 v44, v53
	v_mul_f32_e32 v61, 0x3d64c772, v78
	v_mul_f32_e32 v96, 0x3f08b237, v96
	;; [unrolled: 1-line block ×3, first 2 shown]
	v_fma_f32 v60, 0x3f3bfb3b, v72, -v60
	v_fmac_f32_e32 v44, 0xbf955555, v45
	v_fmamk_f32 v45, v77, 0x3d64c772, v50
	v_fmamk_f32 v77, v78, 0x3d64c772, v51
	v_fma_f32 v50, 0xbf3bfb3b, v72, -v50
	v_fmamk_f32 v72, v42, 0xbeae86e6, v79
	v_fmac_f32_e32 v66, v198, v106
	v_mul_f32_e32 v97, 0x3f5ff5aa, v46
	v_fma_f32 v61, 0x3f3bfb3b, v73, -v61
	v_fma_f32 v51, 0xbf3bfb3b, v73, -v51
	v_fmamk_f32 v73, v43, 0xbeae86e6, v96
	v_fmac_f32_e32 v98, 0x3eae86e6, v43
	v_add_f32_e32 v43, v77, v44
	v_fmac_f32_e32 v72, 0xbee1c552, v48
	v_fma_f32 v46, 0xbf5ff5aa, v46, -v79
	v_fma_f32 v47, 0xbf5ff5aa, v47, -v96
	v_fmac_f32_e32 v97, 0x3eae86e6, v42
	v_add_f32_e32 v42, v45, v99
	v_add_f32_e32 v77, v61, v44
	v_fmac_f32_e32 v73, 0xbee1c552, v49
	v_sub_f32_e32 v61, v43, v72
	v_add_f32_e32 v43, v72, v43
	v_add_f32_e32 v72, v62, v66
	v_sub_f32_e32 v62, v62, v66
	v_add_f32_e32 v66, v58, v64
	v_add_f32_e32 v45, v60, v99
	;; [unrolled: 1-line block ×3, first 2 shown]
	v_fmac_f32_e32 v46, 0xbee1c552, v48
	v_fmac_f32_e32 v47, 0xbee1c552, v49
	;; [unrolled: 1-line block ×3, first 2 shown]
	v_add_f32_e32 v60, v73, v42
	v_sub_f32_e32 v42, v42, v73
	v_add_f32_e32 v73, v63, v67
	v_sub_f32_e32 v63, v63, v67
	v_add_f32_e32 v67, v59, v65
	v_sub_f32_e32 v58, v58, v64
	v_add_f32_e32 v64, v54, v56
	v_sub_f32_e32 v54, v56, v54
	v_add_f32_e32 v56, v66, v72
	v_add_f32_e32 v78, v50, v99
	v_fmac_f32_e32 v98, 0xbee1c552, v49
	v_sub_f32_e32 v49, v79, v97
	v_sub_f32_e32 v50, v45, v47
	v_add_f32_e32 v51, v46, v77
	v_add_f32_e32 v44, v47, v45
	v_sub_f32_e32 v45, v77, v46
	v_add_f32_e32 v47, v97, v79
	v_sub_f32_e32 v59, v59, v65
	v_add_f32_e32 v65, v55, v57
	v_sub_f32_e32 v55, v57, v55
	v_add_f32_e32 v57, v67, v73
	v_sub_f32_e32 v77, v66, v72
	v_sub_f32_e32 v79, v64, v66
	v_add_f32_e32 v66, v54, v58
	v_add_f32_e32 v56, v64, v56
	;; [unrolled: 1-line block ×3, first 2 shown]
	v_sub_f32_e32 v46, v78, v98
	v_sub_f32_e32 v78, v67, v73
	;; [unrolled: 1-line block ×3, first 2 shown]
	v_add_f32_e32 v67, v55, v59
	v_sub_f32_e32 v97, v54, v58
	v_sub_f32_e32 v54, v62, v54
	;; [unrolled: 1-line block ×3, first 2 shown]
	v_add_f32_e32 v57, v65, v57
	v_add_f32_e32 v62, v66, v62
	;; [unrolled: 1-line block ×3, first 2 shown]
	v_sub_f32_e32 v72, v72, v64
	v_sub_f32_e32 v73, v73, v65
	v_sub_f32_e32 v98, v55, v59
	v_sub_f32_e32 v55, v63, v55
	v_sub_f32_e32 v59, v59, v63
	v_add_f32_e32 v63, v67, v63
	v_add_f32_e32 v67, v57, v245
	v_mov_b32_e32 v108, v66
	v_mul_f32_e32 v64, 0x3f4a47b2, v72
	v_mul_f32_e32 v65, 0x3f4a47b2, v73
	;; [unrolled: 1-line block ×6, first 2 shown]
	v_fmac_f32_e32 v108, 0xbf955555, v56
	v_mov_b32_e32 v56, v67
	v_mul_f32_e32 v106, v221, v253
	v_mul_f32_e32 v73, 0x3d64c772, v96
	;; [unrolled: 1-line block ×3, first 2 shown]
	v_fma_f32 v72, 0x3f3bfb3b, v77, -v72
	v_fmac_f32_e32 v56, 0xbf955555, v57
	v_fmamk_f32 v57, v79, 0x3d64c772, v64
	v_fmamk_f32 v79, v96, 0x3d64c772, v65
	v_fma_f32 v64, 0xbf3bfb3b, v77, -v64
	v_fma_f32 v65, 0xbf3bfb3b, v78, -v65
	v_fmamk_f32 v77, v54, 0xbeae86e6, v97
	v_fma_f32 v59, 0xbf5ff5aa, v59, -v98
	v_fmac_f32_e32 v99, 0x3eae86e6, v54
	v_mul_f32_e32 v68, v225, v115
	v_fmac_f32_e32 v106, v220, v252
	v_fma_f32 v73, 0x3f3bfb3b, v78, -v73
	v_fmamk_f32 v78, v55, 0xbeae86e6, v98
	v_fma_f32 v58, 0xbf5ff5aa, v58, -v97
	v_fmac_f32_e32 v101, 0x3eae86e6, v55
	v_add_f32_e32 v54, v57, v108
	v_add_f32_e32 v55, v79, v56
	;; [unrolled: 1-line block ×4, first 2 shown]
	v_fmac_f32_e32 v77, 0xbee1c552, v62
	v_fmac_f32_e32 v59, 0xbee1c552, v63
	;; [unrolled: 1-line block ×4, first 2 shown]
	v_mul_f32_e32 v69, v225, v114
	v_add_f32_e32 v79, v73, v56
	v_add_f32_e32 v96, v64, v108
	v_fmac_f32_e32 v78, 0xbee1c552, v63
	v_fmac_f32_e32 v101, 0xbee1c552, v63
	v_sub_f32_e32 v73, v55, v77
	v_sub_f32_e32 v63, v97, v99
	;; [unrolled: 1-line block ×3, first 2 shown]
	v_add_f32_e32 v56, v59, v57
	v_add_f32_e32 v59, v99, v97
	;; [unrolled: 1-line block ×5, first 2 shown]
	v_fma_f32 v69, v224, v115, -v69
	v_fmac_f32_e32 v58, 0xbee1c552, v62
	v_add_f32_e32 v72, v78, v54
	v_sub_f32_e32 v54, v54, v78
	v_add_f32_e32 v78, v105, v129
	v_add_f32_e32 v98, v75, v107
	;; [unrolled: 1-line block ×3, first 2 shown]
	v_sub_f32_e32 v68, v70, v68
	v_add_f32_e32 v70, v97, v77
	v_add_f32_e32 v62, v101, v96
	;; [unrolled: 1-line block ×3, first 2 shown]
	v_sub_f32_e32 v57, v79, v58
	v_sub_f32_e32 v58, v96, v101
	v_add_f32_e32 v101, v69, v71
	v_sub_f32_e32 v69, v71, v69
	v_add_f32_e32 v71, v98, v78
	v_add_f32_e32 v70, v99, v70
	v_sub_f32_e32 v79, v104, v128
	v_sub_f32_e32 v96, v105, v129
	v_sub_f32_e32 v74, v74, v106
	v_sub_f32_e32 v75, v75, v107
	v_add_f32_e32 v71, v101, v71
	v_add_f32_e32 v128, v70, v246
	v_sub_f32_e32 v104, v97, v77
	v_sub_f32_e32 v105, v98, v78
	v_sub_f32_e32 v77, v77, v99
	;; [unrolled: 6-line block ×3, first 2 shown]
	v_sub_f32_e32 v75, v75, v96
	v_add_f32_e32 v129, v71, v247
	v_mov_b32_e32 v110, v128
	v_sub_f32_e32 v97, v99, v97
	v_sub_f32_e32 v98, v101, v98
	;; [unrolled: 1-line block ×4, first 2 shown]
	v_add_f32_e32 v79, v106, v79
	v_add_f32_e32 v96, v107, v96
	v_mul_f32_e32 v77, 0x3f4a47b2, v77
	v_mul_f32_e32 v78, 0x3f4a47b2, v78
	;; [unrolled: 1-line block ×6, first 2 shown]
	v_fmac_f32_e32 v110, 0xbf955555, v70
	v_mov_b32_e32 v70, v129
	v_mul_f32_e32 v94, v237, v113
	v_mul_f32_e32 v99, 0x3d64c772, v97
	;; [unrolled: 1-line block ×3, first 2 shown]
	v_fmac_f32_e32 v108, 0x3eae86e6, v68
	v_fmac_f32_e32 v70, 0xbf955555, v71
	v_fmamk_f32 v71, v97, 0x3d64c772, v77
	v_fmamk_f32 v97, v98, 0x3d64c772, v78
	v_fma_f32 v77, 0xbf3bfb3b, v104, -v77
	v_fma_f32 v78, 0xbf3bfb3b, v105, -v78
	v_fmac_f32_e32 v109, 0x3eae86e6, v69
	v_fmac_f32_e32 v94, v236, v112
	v_fma_f32 v98, 0x3f3bfb3b, v104, -v99
	v_fma_f32 v99, 0x3f3bfb3b, v105, -v101
	v_fmamk_f32 v101, v68, 0xbeae86e6, v106
	v_fma_f32 v74, 0xbf5ff5aa, v74, -v106
	v_add_f32_e32 v112, v71, v110
	v_add_f32_e32 v71, v77, v110
	;; [unrolled: 1-line block ×3, first 2 shown]
	v_fmac_f32_e32 v108, 0xbee1c552, v79
	v_fmac_f32_e32 v109, 0xbee1c552, v96
	v_fmamk_f32 v111, v69, 0xbeae86e6, v107
	v_add_f32_e32 v113, v97, v70
	v_add_f32_e32 v69, v99, v70
	v_fmac_f32_e32 v101, 0xbee1c552, v79
	v_fmac_f32_e32 v74, 0xbee1c552, v79
	v_add_f32_e32 v104, v109, v71
	v_sub_f32_e32 v105, v77, v108
	v_sub_f32_e32 v70, v71, v109
	v_add_f32_e32 v71, v108, v77
	v_add_f32_e32 v77, v94, v130
	v_sub_f32_e32 v79, v94, v130
	v_add_f32_e32 v94, v92, v102
	v_add_f32_e32 v68, v98, v110
	;; [unrolled: 1-line block ×3, first 2 shown]
	v_sub_f32_e32 v76, v95, v76
	v_add_f32_e32 v95, v93, v103
	v_add_f32_e32 v98, v84, v86
	v_sub_f32_e32 v84, v86, v84
	v_add_f32_e32 v86, v94, v77
	v_fma_f32 v75, 0xbf5ff5aa, v75, -v107
	v_fmac_f32_e32 v111, 0xbee1c552, v96
	v_sub_f32_e32 v92, v92, v102
	v_add_f32_e32 v99, v85, v87
	v_sub_f32_e32 v85, v87, v85
	v_add_f32_e32 v87, v95, v78
	v_add_f32_e32 v86, v98, v86
	v_fmac_f32_e32 v75, 0xbee1c552, v96
	v_add_f32_e32 v96, v111, v112
	v_add_f32_e32 v107, v74, v69
	v_sub_f32_e32 v69, v69, v74
	v_sub_f32_e32 v74, v112, v111
	;; [unrolled: 1-line block ×3, first 2 shown]
	v_add_f32_e32 v103, v84, v92
	v_sub_f32_e32 v109, v84, v92
	v_sub_f32_e32 v111, v79, v84
	v_add_f32_e32 v87, v99, v87
	v_add_f32_e32 v84, v86, v240
	v_sub_f32_e32 v97, v113, v101
	v_sub_f32_e32 v106, v68, v75
	v_add_f32_e32 v68, v75, v68
	v_add_f32_e32 v75, v101, v113
	v_sub_f32_e32 v101, v94, v77
	v_sub_f32_e32 v102, v95, v78
	;; [unrolled: 1-line block ×6, first 2 shown]
	v_add_f32_e32 v108, v85, v93
	v_sub_f32_e32 v110, v85, v93
	v_sub_f32_e32 v112, v76, v85
	v_add_f32_e32 v85, v87, v241
	v_mov_b32_e32 v113, v84
	v_sub_f32_e32 v92, v92, v79
	v_add_f32_e32 v79, v103, v79
	v_mul_f32_e32 v77, 0x3f4a47b2, v77
	v_mul_f32_e32 v78, 0x3f4a47b2, v78
	;; [unrolled: 1-line block ×5, first 2 shown]
	v_fmac_f32_e32 v113, 0xbf955555, v86
	v_mov_b32_e32 v86, v85
	v_mul_f32_e32 v109, 0x3f5ff5aa, v92
	v_sub_f32_e32 v93, v93, v76
	v_fma_f32 v92, 0xbf5ff5aa, v92, -v103
	v_add_f32_e32 v76, v108, v76
	v_fmac_f32_e32 v86, 0xbf955555, v87
	v_fmamk_f32 v87, v94, 0x3d64c772, v77
	v_fmamk_f32 v94, v95, 0x3d64c772, v78
	v_fma_f32 v95, 0x3f3bfb3b, v101, -v98
	v_fma_f32 v98, 0x3f3bfb3b, v102, -v99
	v_fmamk_f32 v99, v111, 0xbeae86e6, v103
	v_fmac_f32_e32 v109, 0x3eae86e6, v111
	v_fmac_f32_e32 v92, 0xbee1c552, v79
	v_mul_f32_e32 v108, 0x3f08b237, v110
	v_add_f32_e32 v98, v98, v86
	v_fmac_f32_e32 v99, 0xbee1c552, v79
	v_fmac_f32_e32 v109, 0xbee1c552, v79
	v_mul_f32_e32 v110, 0x3f5ff5aa, v93
	v_fma_f32 v77, 0xbf3bfb3b, v101, -v77
	v_add_f32_e32 v153, v92, v98
	v_sub_f32_e32 v79, v98, v92
	buffer_load_dword v92, off, s[16:19], 0 offset:668 ; 4-byte Folded Reload
	s_waitcnt vmcnt(0)
	ds_write2_b64 v92, v[12:13], v[14:15] offset1:7
	ds_write2_b64 v92, v[8:9], v[10:11] offset0:14 offset1:21
	ds_write2_b64 v92, v[4:5], v[6:7] offset0:28 offset1:35
	ds_write_b64 v92, v[0:1] offset:336
	buffer_load_dword v0, off, s[16:19], 0 offset:676 ; 4-byte Folded Reload
	s_waitcnt vmcnt(0)
	ds_write2_b64 v0, v[24:25], v[32:33] offset1:7
	ds_write2_b64 v0, v[20:21], v[22:23] offset0:14 offset1:21
	ds_write2_b64 v0, v[16:17], v[18:19] offset0:28 offset1:35
	ds_write_b64 v0, v[2:3] offset:336
	;; [unrolled: 6-line block ×6, first 2 shown]
	buffer_load_dword v0, off, s[16:19], 0 offset:672 ; 4-byte Folded Reload
	v_fmamk_f32 v101, v112, 0xbeae86e6, v108
	v_fma_f32 v78, 0xbf3bfb3b, v102, -v78
	v_fma_f32 v93, 0xbf5ff5aa, v93, -v108
	v_fmac_f32_e32 v110, 0x3eae86e6, v112
	v_add_f32_e32 v102, v87, v113
	v_add_f32_e32 v94, v94, v86
	v_fmac_f32_e32 v101, 0xbee1c552, v76
	v_add_f32_e32 v95, v95, v113
	v_add_f32_e32 v77, v77, v113
	;; [unrolled: 1-line block ×3, first 2 shown]
	v_fmac_f32_e32 v93, 0xbee1c552, v76
	v_fmac_f32_e32 v110, 0xbee1c552, v76
	v_add_f32_e32 v86, v101, v102
	v_sub_f32_e32 v87, v94, v99
	v_sub_f32_e32 v143, v103, v109
	;; [unrolled: 1-line block ×3, first 2 shown]
	v_add_f32_e32 v142, v110, v77
	v_add_f32_e32 v78, v93, v95
	v_sub_f32_e32 v140, v77, v110
	v_add_f32_e32 v141, v109, v103
	v_sub_f32_e32 v76, v102, v101
	v_add_f32_e32 v77, v99, v94
	s_waitcnt vmcnt(0)
	ds_write2_b64 v0, v[84:85], v[86:87] offset1:7
	ds_write2_b64 v0, v[142:143], v[152:153] offset0:14 offset1:21
	ds_write2_b64 v0, v[78:79], v[140:141] offset0:28 offset1:35
	ds_write_b64 v0, v[76:77] offset:336
	s_waitcnt lgkmcnt(0)
	s_barrier
	buffer_gl0_inv
	ds_read2_b64 v[6:9], v119 offset0:174 offset1:223
	v_add_nc_u32_e32 v128, 0x1c00, v100
	v_add_nc_u32_e32 v221, 0x800, v100
	;; [unrolled: 1-line block ×3, first 2 shown]
	ds_read2_b64 v[72:75], v100 offset1:49
	v_mov_b32_e32 v223, v119
	ds_read2_b64 v[10:13], v128 offset0:84 offset1:133
	ds_read2_b64 v[60:63], v221 offset0:38 offset1:87
	ds_read2_b64 v[14:17], v220 offset0:92 offset1:141
	ds_read2_b64 v[76:79], v135 offset0:130 offset1:179
	v_add_nc_u32_e32 v119, 0x4000, v100
	v_add_nc_u32_e32 v225, 0x2000, v100
	;; [unrolled: 1-line block ×5, first 2 shown]
	ds_read2_b64 v[18:21], v119 offset0:10 offset1:59
	ds_read2_b64 v[22:25], v221 offset0:136 offset1:185
	;; [unrolled: 1-line block ×16, first 2 shown]
	s_waitcnt lgkmcnt(21)
	v_mul_f32_e32 v102, v83, v7
	ds_read2_b64 v[200:203], v226 offset0:122 offset1:171
	ds_read2_b64 v[208:211], v118 offset0:168 offset1:217
	ds_read_b64 v[4:5], v100 offset:18816
	v_mul_f32_e32 v92, v83, v9
	v_mov_b32_e32 v222, v135
	v_fmac_f32_e32 v102, v82, v6
	v_mul_f32_e32 v6, v83, v6
	s_waitcnt lgkmcnt(22)
	v_mul_f32_e32 v84, v89, v13
	s_waitcnt lgkmcnt(20)
	v_mul_f32_e32 v99, v91, v15
	v_mul_f32_e32 v104, v81, v63
	;; [unrolled: 1-line block ×3, first 2 shown]
	v_fma_f32 v103, v82, v7, -v6
	v_mul_f32_e32 v6, v89, v12
	v_fmac_f32_e32 v84, v88, v12
	v_fmac_f32_e32 v99, v90, v14
	s_waitcnt lgkmcnt(16)
	v_mul_f32_e32 v68, v89, v27
	v_mul_f32_e32 v106, v132, v79
	v_fma_f32 v85, v88, v13, -v6
	v_mul_f32_e32 v6, v91, v14
	v_mul_f32_e32 v94, v81, v23
	v_fmac_f32_e32 v68, v88, v26
	v_fmac_f32_e32 v104, v80, v62
	v_fma_f32 v105, v80, v63, -v38
	v_fma_f32 v101, v90, v15, -v6
	s_clause 0x3
	buffer_load_dword v12, off, s[16:19], 0 offset:812
	buffer_load_dword v13, off, s[16:19], 0 offset:816
	;; [unrolled: 1-line block ×4, first 2 shown]
	v_mul_f32_e32 v6, v132, v78
	v_fmac_f32_e32 v106, v131, v78
	v_fmac_f32_e32 v94, v80, v22
	v_mul_f32_e32 v108, v134, v19
	v_mul_f32_e32 v70, v91, v17
	v_fma_f32 v107, v131, v79, -v6
	v_mul_f32_e32 v6, v134, v18
	v_fmac_f32_e32 v92, v82, v8
	v_fmac_f32_e32 v108, v133, v18
	;; [unrolled: 1-line block ×3, first 2 shown]
	s_waitcnt lgkmcnt(15)
	v_mul_f32_e32 v96, v132, v31
	v_fma_f32 v109, v133, v19, -v6
	v_mul_f32_e32 v6, v81, v22
	v_sub_f32_e32 v81, v102, v106
	s_waitcnt lgkmcnt(10)
	v_mul_f32_e32 v38, v149, v115
	v_fmac_f32_e32 v96, v131, v30
	v_mul_f32_e32 v48, v139, v113
	v_fma_f32 v95, v80, v23, -v6
	v_mul_f32_e32 v6, v83, v8
	v_add_f32_e32 v83, v84, v99
	v_sub_f32_e32 v84, v99, v84
	v_fmac_f32_e32 v38, v148, v114
	v_fmac_f32_e32 v48, v138, v112
	v_fma_f32 v93, v82, v9, -v6
	v_mul_f32_e32 v6, v89, v26
	v_sub_f32_e32 v82, v103, v107
	v_mul_f32_e32 v89, v134, v21
	v_mul_f32_e32 v39, v151, v37
	s_waitcnt lgkmcnt(9)
	v_mul_f32_e32 v40, v145, v141
	v_fma_f32 v69, v88, v27, -v6
	v_mul_f32_e32 v6, v91, v16
	v_fmac_f32_e32 v89, v133, v20
	v_fmac_f32_e32 v39, v150, v36
	;; [unrolled: 1-line block ×3, first 2 shown]
	v_mul_f32_e32 v26, v177, v117
	v_fma_f32 v71, v90, v17, -v6
	v_mul_f32_e32 v6, v132, v30
	v_add_f32_e32 v90, v85, v101
	v_sub_f32_e32 v85, v101, v85
	s_waitcnt lgkmcnt(6)
	v_mul_f32_e32 v27, v179, v157
	v_fmac_f32_e32 v26, v176, v116
	v_fma_f32 v88, v131, v31, -v6
	v_mul_f32_e32 v6, v134, v20
	s_waitcnt lgkmcnt(1)
	v_mul_f32_e32 v22, v189, v209
	v_fmac_f32_e32 v27, v178, v156
	v_mul_f32_e32 v16, v193, v201
	v_mul_f32_e32 v20, v195, v167
	v_fma_f32 v97, v133, v21, -v6
	v_fmac_f32_e32 v22, v188, v208
	v_mul_f32_e32 v7, v217, v198
	v_fmac_f32_e32 v16, v192, v200
	v_fmac_f32_e32 v20, v194, v166
	v_mul_f32_e32 v8, v219, v10
	v_fma_f32 v9, v216, v199, -v7
	v_mul_f32_e32 v7, v219, v11
	v_fmac_f32_e32 v7, v218, v10
	v_fma_f32 v10, v218, v11, -v8
	v_mul_f32_e32 v8, v213, v203
	v_mul_f32_e32 v11, v213, v202
	v_fmac_f32_e32 v8, v212, v202
	v_fma_f32 v11, v212, v203, -v11
	s_waitcnt vmcnt(2)
	v_mul_f32_e32 v6, v13, v24
	v_mul_f32_e32 v50, v13, v25
	s_waitcnt vmcnt(0)
	v_mul_f32_e32 v51, v15, v35
	v_fma_f32 v53, v12, v25, -v6
	v_mul_f32_e32 v6, v15, v34
	v_fmac_f32_e32 v50, v12, v24
	v_fmac_f32_e32 v51, v14, v34
	v_mul_f32_e32 v34, v161, v155
	v_mul_f32_e32 v24, v191, v175
	v_fma_f32 v54, v14, v35, -v6
	s_clause 0x3
	buffer_load_dword v12, off, s[16:19], 0 offset:848
	buffer_load_dword v13, off, s[16:19], 0 offset:852
	;; [unrolled: 1-line block ×4, first 2 shown]
	v_fmac_f32_e32 v34, v160, v154
	v_fmac_f32_e32 v24, v190, v174
	s_waitcnt vmcnt(2)
	v_mul_f32_e32 v6, v13, v28
	v_mul_f32_e32 v52, v13, v29
	s_waitcnt vmcnt(0)
	v_mul_f32_e32 v56, v15, v44
	v_fma_f32 v55, v12, v29, -v6
	v_mul_f32_e32 v6, v15, v43
	v_fmac_f32_e32 v52, v12, v28
	v_fmac_f32_e32 v56, v14, v43
	v_mul_f32_e32 v28, v169, v143
	v_fma_f32 v57, v14, v44, -v6
	s_clause 0x3
	buffer_load_dword v12, off, s[16:19], 0 offset:864
	buffer_load_dword v13, off, s[16:19], 0 offset:868
	;; [unrolled: 1-line block ×4, first 2 shown]
	v_mul_f32_e32 v44, v147, v46
	v_fmac_f32_e32 v28, v168, v142
	v_fmac_f32_e32 v44, v146, v45
	s_waitcnt vmcnt(2)
	v_mul_f32_e32 v58, v13, v33
	v_mul_f32_e32 v6, v13, v32
	;; [unrolled: 1-line block ×3, first 2 shown]
	s_waitcnt vmcnt(0)
	v_mul_f32_e32 v62, v15, v111
	v_fmac_f32_e32 v58, v12, v32
	v_fma_f32 v59, v12, v33, -v6
	v_mul_f32_e32 v12, v215, v77
	v_fma_f32 v13, v214, v77, -v13
	s_clause 0x3
	buffer_load_dword v77, off, s[16:19], 0 offset:960
	buffer_load_dword v78, off, s[16:19], 0 offset:964
	;; [unrolled: 1-line block ×4, first 2 shown]
	v_mul_f32_e32 v6, v15, v110
	v_fmac_f32_e32 v62, v14, v110
	v_fmac_f32_e32 v12, v214, v76
	v_mul_f32_e32 v32, v171, v165
	v_mul_f32_e32 v15, v207, v159
	v_fma_f32 v63, v14, v111, -v6
	v_mul_f32_e32 v6, v149, v114
	v_mul_f32_e32 v14, v205, v197
	v_fmac_f32_e32 v32, v170, v164
	v_fmac_f32_e32 v15, v206, v158
	s_waitcnt vmcnt(0) lgkmcnt(0)
	v_fma_f32 v41, v148, v115, -v6
	v_mul_f32_e32 v6, v151, v36
	v_mul_f32_e32 v36, v163, v173
	v_fmac_f32_e32 v14, v204, v196
	s_barrier
	buffer_gl0_inv
	v_fma_f32 v42, v150, v37, -v6
	v_mul_f32_e32 v6, v145, v140
	v_fmac_f32_e32 v36, v162, v172
	v_mov_b32_e32 v145, v128
	v_fma_f32 v43, v144, v141, -v6
	v_mul_f32_e32 v6, v147, v45
	v_mov_b32_e32 v144, v129
	v_fma_f32 v45, v146, v46, -v6
	v_mul_f32_e32 v6, v137, v152
	v_mul_f32_e32 v46, v137, v153
	v_mov_b32_e32 v146, v130
	v_fma_f32 v47, v136, v153, -v6
	v_mul_f32_e32 v6, v139, v112
	v_fmac_f32_e32 v46, v136, v152
	v_fma_f32 v49, v138, v113, -v6
	v_mul_f32_e32 v6, v177, v116
	v_fma_f32 v29, v176, v117, -v6
	v_mul_f32_e32 v6, v179, v156
	;; [unrolled: 2-line block ×13, first 2 shown]
	v_fmac_f32_e32 v6, v216, v198
	v_mul_f32_e32 v86, v78, v211
	v_mul_f32_e32 v76, v78, v210
	v_sub_f32_e32 v78, v105, v109
	v_fmac_f32_e32 v86, v77, v210
	v_fma_f32 v87, v77, v211, -v76
	v_mov_b32_e32 v76, v79
	v_mov_b32_e32 v77, v80
	v_add_f32_e32 v79, v102, v106
	v_add_f32_e32 v80, v103, v107
	;; [unrolled: 1-line block ×3, first 2 shown]
	v_sub_f32_e32 v106, v85, v82
	v_mul_f32_e32 v98, v77, v5
	v_fmac_f32_e32 v98, v76, v4
	v_mul_f32_e32 v4, v77, v4
	v_sub_f32_e32 v77, v104, v108
	v_fma_f32 v4, v76, v5, -v4
	v_add_f32_e32 v5, v104, v108
	v_add_f32_e32 v76, v105, v109
	v_add_f32_e32 v104, v85, v82
	v_sub_f32_e32 v105, v84, v81
	v_sub_f32_e32 v82, v82, v78
	v_add_f32_e32 v91, v79, v5
	v_add_f32_e32 v99, v80, v76
	v_sub_f32_e32 v101, v79, v5
	v_sub_f32_e32 v5, v5, v83
	;; [unrolled: 1-line block ×3, first 2 shown]
	v_add_f32_e32 v83, v83, v91
	v_sub_f32_e32 v102, v80, v76
	v_sub_f32_e32 v76, v76, v90
	;; [unrolled: 1-line block ×3, first 2 shown]
	v_add_f32_e32 v99, v90, v99
	v_add_f32_e32 v90, v83, v72
	v_sub_f32_e32 v84, v77, v84
	v_sub_f32_e32 v85, v78, v85
	v_sub_f32_e32 v81, v81, v77
	v_add_f32_e32 v91, v99, v73
	v_mov_b32_e32 v107, v90
	v_add_f32_e32 v77, v103, v77
	v_add_f32_e32 v78, v104, v78
	v_mul_f32_e32 v5, 0x3f4a47b2, v5
	v_mul_f32_e32 v72, 0x3f4a47b2, v76
	;; [unrolled: 1-line block ×7, first 2 shown]
	v_fmac_f32_e32 v107, 0xbf955555, v83
	v_mov_b32_e32 v83, v91
	v_fmamk_f32 v79, v79, 0x3d64c772, v5
	v_fmamk_f32 v80, v80, 0x3d64c772, v72
	v_fma_f32 v73, 0x3f3bfb3b, v101, -v73
	v_fma_f32 v76, 0x3f3bfb3b, v102, -v76
	v_fmac_f32_e32 v83, 0xbf955555, v99
	v_fma_f32 v5, 0xbf3bfb3b, v101, -v5
	v_fma_f32 v72, 0xbf3bfb3b, v102, -v72
	v_fmamk_f32 v99, v84, 0xbeae86e6, v103
	v_fma_f32 v102, 0xbf5ff5aa, v81, -v103
	v_fma_f32 v103, 0xbf5ff5aa, v82, -v104
	v_fmac_f32_e32 v106, 0x3eae86e6, v85
	v_fmamk_f32 v101, v85, 0xbeae86e6, v104
	v_add_f32_e32 v108, v80, v83
	v_add_f32_e32 v73, v73, v107
	;; [unrolled: 1-line block ×3, first 2 shown]
	v_fmac_f32_e32 v99, 0xbee1c552, v77
	v_fmac_f32_e32 v103, 0xbee1c552, v78
	;; [unrolled: 1-line block ×3, first 2 shown]
	v_mul_f32_e32 v105, 0x3f5ff5aa, v81
	v_add_f32_e32 v104, v79, v107
	v_add_f32_e32 v79, v76, v83
	v_fmac_f32_e32 v101, 0xbee1c552, v78
	v_sub_f32_e32 v85, v108, v99
	v_add_f32_e32 v80, v106, v5
	v_sub_f32_e32 v82, v73, v103
	v_add_f32_e32 v76, v103, v73
	v_sub_f32_e32 v78, v5, v106
	v_add_f32_e32 v73, v99, v108
	v_add_f32_e32 v5, v94, v89
	v_add_f32_e32 v99, v95, v97
	v_sub_f32_e32 v89, v94, v89
	v_sub_f32_e32 v94, v95, v97
	v_add_f32_e32 v95, v92, v96
	v_fmac_f32_e32 v105, 0x3eae86e6, v84
	v_add_f32_e32 v97, v93, v88
	v_sub_f32_e32 v88, v93, v88
	v_add_f32_e32 v93, v68, v70
	v_sub_f32_e32 v68, v70, v68
	v_add_f32_e32 v70, v95, v5
	v_add_f32_e32 v72, v72, v83
	v_fmac_f32_e32 v102, 0xbee1c552, v77
	v_fmac_f32_e32 v105, 0xbee1c552, v77
	v_sub_f32_e32 v92, v92, v96
	v_add_f32_e32 v96, v69, v71
	v_sub_f32_e32 v69, v71, v69
	v_add_f32_e32 v71, v97, v99
	v_add_f32_e32 v70, v93, v70
	v_sub_f32_e32 v81, v72, v105
	v_add_f32_e32 v83, v102, v79
	v_sub_f32_e32 v77, v79, v102
	;; [unrolled: 2-line block ×3, first 2 shown]
	v_add_f32_e32 v71, v96, v71
	v_add_f32_e32 v114, v70, v74
	;; [unrolled: 1-line block ×3, first 2 shown]
	v_sub_f32_e32 v72, v104, v101
	v_sub_f32_e32 v101, v95, v5
	;; [unrolled: 1-line block ×6, first 2 shown]
	v_add_f32_e32 v104, v69, v88
	v_sub_f32_e32 v106, v69, v88
	v_sub_f32_e32 v88, v88, v94
	v_add_f32_e32 v115, v71, v75
	v_mul_f32_e32 v96, 0x3f08b237, v105
	v_mov_b32_e32 v105, v114
	v_sub_f32_e32 v95, v93, v95
	v_sub_f32_e32 v69, v94, v69
	v_add_f32_e32 v93, v104, v94
	v_mul_f32_e32 v5, 0x3f4a47b2, v5
	v_mul_f32_e32 v104, 0x3f5ff5aa, v88
	v_fmac_f32_e32 v105, 0xbf955555, v70
	v_mov_b32_e32 v70, v115
	v_add_f32_e32 v103, v68, v92
	v_sub_f32_e32 v92, v92, v89
	v_mul_f32_e32 v74, 0x3f4a47b2, v99
	v_mul_f32_e32 v75, 0x3d64c772, v95
	;; [unrolled: 1-line block ×3, first 2 shown]
	v_fmac_f32_e32 v70, 0xbf955555, v71
	v_fmamk_f32 v71, v95, 0x3d64c772, v5
	v_fma_f32 v5, 0xbf3bfb3b, v101, -v5
	v_fmac_f32_e32 v104, 0x3eae86e6, v69
	v_sub_f32_e32 v68, v89, v68
	v_add_f32_e32 v89, v103, v89
	v_mul_f32_e32 v94, 0x3d64c772, v97
	v_mul_f32_e32 v103, 0x3f5ff5aa, v92
	v_fma_f32 v75, 0x3f3bfb3b, v101, -v75
	v_fmamk_f32 v101, v69, 0xbeae86e6, v99
	v_add_f32_e32 v5, v5, v105
	v_fmac_f32_e32 v104, 0xbee1c552, v93
	v_fmamk_f32 v95, v97, 0x3d64c772, v74
	v_fma_f32 v94, 0x3f3bfb3b, v102, -v94
	v_fma_f32 v74, 0xbf3bfb3b, v102, -v74
	v_fmamk_f32 v97, v68, 0xbeae86e6, v96
	v_fmac_f32_e32 v103, 0x3eae86e6, v68
	v_add_f32_e32 v68, v71, v105
	v_fmac_f32_e32 v101, 0xbee1c552, v93
	v_add_f32_e32 v112, v104, v5
	v_sub_f32_e32 v102, v5, v104
	v_add_f32_e32 v5, v50, v62
	v_sub_f32_e32 v50, v50, v62
	v_add_f32_e32 v62, v51, v58
	v_fma_f32 v88, 0xbf5ff5aa, v88, -v99
	v_add_f32_e32 v110, v101, v68
	v_sub_f32_e32 v104, v68, v101
	v_add_f32_e32 v68, v53, v63
	v_sub_f32_e32 v53, v53, v63
	;; [unrolled: 2-line block ×3, first 2 shown]
	v_sub_f32_e32 v54, v54, v59
	v_add_f32_e32 v58, v52, v56
	v_add_f32_e32 v59, v55, v57
	v_sub_f32_e32 v52, v56, v52
	v_sub_f32_e32 v55, v57, v55
	v_add_f32_e32 v56, v62, v5
	v_fma_f32 v92, 0xbf5ff5aa, v92, -v96
	v_add_f32_e32 v69, v95, v70
	v_add_f32_e32 v71, v75, v105
	;; [unrolled: 1-line block ×4, first 2 shown]
	v_fmac_f32_e32 v88, 0xbee1c552, v93
	v_add_f32_e32 v57, v63, v68
	v_add_f32_e32 v74, v55, v54
	;; [unrolled: 1-line block ×3, first 2 shown]
	v_fmac_f32_e32 v97, 0xbee1c552, v89
	v_fmac_f32_e32 v92, 0xbee1c552, v89
	;; [unrolled: 1-line block ×3, first 2 shown]
	v_sub_f32_e32 v106, v71, v88
	v_add_f32_e32 v108, v88, v71
	v_add_f32_e32 v71, v52, v51
	v_sub_f32_e32 v89, v55, v54
	v_sub_f32_e32 v55, v53, v55
	;; [unrolled: 1-line block ×3, first 2 shown]
	v_add_f32_e32 v57, v59, v57
	v_add_f32_e32 v53, v74, v53
	;; [unrolled: 1-line block ×3, first 2 shown]
	v_sub_f32_e32 v111, v69, v97
	v_sub_f32_e32 v113, v70, v103
	v_add_f32_e32 v107, v92, v75
	v_sub_f32_e32 v109, v75, v92
	v_add_f32_e32 v103, v103, v70
	v_add_f32_e32 v105, v97, v69
	v_sub_f32_e32 v69, v62, v5
	v_sub_f32_e32 v70, v63, v68
	;; [unrolled: 1-line block ×8, first 2 shown]
	v_add_f32_e32 v50, v71, v50
	v_add_f32_e32 v75, v57, v1
	v_mov_b32_e32 v71, v74
	v_sub_f32_e32 v63, v59, v63
	v_mul_f32_e32 v0, 0x3f4a47b2, v5
	v_mul_f32_e32 v1, 0x3f4a47b2, v68
	;; [unrolled: 1-line block ×6, first 2 shown]
	v_fmac_f32_e32 v71, 0xbf955555, v56
	v_mov_b32_e32 v56, v75
	v_mul_f32_e32 v58, 0x3d64c772, v63
	v_fma_f32 v5, 0x3f3bfb3b, v69, -v5
	v_fma_f32 v54, 0xbf5ff5aa, v54, -v68
	v_fmac_f32_e32 v92, 0x3eae86e6, v52
	v_fmac_f32_e32 v56, 0xbf955555, v57
	v_fmamk_f32 v57, v62, 0x3d64c772, v0
	v_fmamk_f32 v62, v63, 0x3d64c772, v1
	v_fma_f32 v0, 0xbf3bfb3b, v69, -v0
	v_fma_f32 v1, 0xbf3bfb3b, v70, -v1
	v_fmac_f32_e32 v93, 0x3eae86e6, v55
	v_mul_f32_e32 v59, 0x3f08b237, v88
	v_fma_f32 v58, 0x3f3bfb3b, v70, -v58
	v_add_f32_e32 v5, v5, v71
	v_add_f32_e32 v0, v0, v71
	v_add_f32_e32 v1, v1, v56
	v_fmac_f32_e32 v54, 0xbee1c552, v53
	v_fmac_f32_e32 v92, 0xbee1c552, v50
	;; [unrolled: 1-line block ×3, first 2 shown]
	v_fmamk_f32 v63, v52, 0xbeae86e6, v59
	v_fmamk_f32 v94, v55, 0xbeae86e6, v68
	v_fma_f32 v51, 0xbf5ff5aa, v51, -v59
	v_add_f32_e32 v52, v57, v71
	v_add_f32_e32 v55, v62, v56
	;; [unrolled: 1-line block ×4, first 2 shown]
	v_sub_f32_e32 v69, v1, v92
	v_sub_f32_e32 v70, v5, v54
	v_add_f32_e32 v56, v54, v5
	v_sub_f32_e32 v58, v0, v93
	v_add_f32_e32 v59, v92, v1
	v_add_f32_e32 v0, v38, v48
	;; [unrolled: 1-line block ×3, first 2 shown]
	v_sub_f32_e32 v5, v38, v48
	v_sub_f32_e32 v38, v41, v49
	v_add_f32_e32 v41, v39, v46
	v_fmac_f32_e32 v94, 0xbee1c552, v53
	v_add_f32_e32 v48, v42, v47
	v_sub_f32_e32 v39, v39, v46
	v_sub_f32_e32 v42, v42, v47
	v_add_f32_e32 v46, v40, v44
	v_add_f32_e32 v47, v43, v45
	v_sub_f32_e32 v40, v44, v40
	v_sub_f32_e32 v43, v45, v43
	v_add_f32_e32 v44, v41, v0
	v_fmac_f32_e32 v63, 0xbee1c552, v50
	v_fmac_f32_e32 v51, 0xbee1c552, v50
	v_add_f32_e32 v88, v94, v52
	v_sub_f32_e32 v62, v52, v94
	v_add_f32_e32 v45, v48, v1
	v_add_f32_e32 v52, v43, v42
	;; [unrolled: 1-line block ×3, first 2 shown]
	v_sub_f32_e32 v89, v55, v63
	v_add_f32_e32 v71, v51, v57
	v_sub_f32_e32 v57, v57, v51
	v_add_f32_e32 v63, v63, v55
	v_sub_f32_e32 v49, v41, v0
	v_sub_f32_e32 v0, v0, v46
	v_add_f32_e32 v51, v40, v39
	v_sub_f32_e32 v55, v43, v42
	v_sub_f32_e32 v43, v38, v43
	;; [unrolled: 1-line block ×3, first 2 shown]
	v_add_f32_e32 v45, v47, v45
	v_add_f32_e32 v38, v52, v38
	;; [unrolled: 1-line block ×3, first 2 shown]
	v_sub_f32_e32 v50, v48, v1
	v_sub_f32_e32 v1, v1, v47
	;; [unrolled: 1-line block ×7, first 2 shown]
	v_add_f32_e32 v5, v51, v5
	v_add_f32_e32 v53, v45, v3
	v_mul_f32_e32 v0, 0x3f4a47b2, v0
	v_mul_f32_e32 v93, 0x3f5ff5aa, v42
	v_mov_b32_e32 v51, v52
	v_mul_f32_e32 v1, 0x3f4a47b2, v1
	v_mul_f32_e32 v2, 0x3d64c772, v41
	;; [unrolled: 1-line block ×6, first 2 shown]
	v_fmac_f32_e32 v51, 0xbf955555, v44
	v_mov_b32_e32 v44, v53
	v_fmamk_f32 v41, v41, 0x3d64c772, v0
	v_fma_f32 v0, 0xbf3bfb3b, v49, -v0
	v_fmac_f32_e32 v93, 0x3eae86e6, v43
	v_fma_f32 v2, 0x3f3bfb3b, v49, -v2
	v_fmac_f32_e32 v44, 0xbf955555, v45
	v_fmamk_f32 v45, v48, 0x3d64c772, v1
	v_fma_f32 v3, 0x3f3bfb3b, v50, -v3
	v_fma_f32 v1, 0xbf3bfb3b, v50, -v1
	v_fmamk_f32 v94, v40, 0xbeae86e6, v46
	v_fma_f32 v39, 0xbf5ff5aa, v39, -v46
	v_fma_f32 v42, 0xbf5ff5aa, v42, -v47
	v_fmac_f32_e32 v92, 0x3eae86e6, v40
	v_add_f32_e32 v0, v0, v51
	v_fmac_f32_e32 v93, 0xbee1c552, v38
	v_add_f32_e32 v40, v41, v51
	v_add_f32_e32 v41, v45, v44
	;; [unrolled: 1-line block ×5, first 2 shown]
	v_fmac_f32_e32 v94, 0xbee1c552, v5
	v_fmac_f32_e32 v39, 0xbee1c552, v5
	;; [unrolled: 1-line block ×4, first 2 shown]
	v_add_f32_e32 v48, v93, v0
	v_sub_f32_e32 v44, v0, v93
	v_add_f32_e32 v0, v26, v36
	v_add_f32_e32 v5, v27, v34
	v_fmamk_f32 v95, v43, 0xbeae86e6, v47
	v_sub_f32_e32 v49, v1, v92
	v_sub_f32_e32 v50, v2, v42
	v_add_f32_e32 v51, v39, v3
	v_add_f32_e32 v42, v42, v2
	v_sub_f32_e32 v43, v3, v39
	v_add_f32_e32 v45, v92, v1
	v_add_f32_e32 v1, v29, v37
	v_sub_f32_e32 v2, v26, v36
	v_sub_f32_e32 v3, v29, v37
	v_add_f32_e32 v26, v30, v35
	v_sub_f32_e32 v27, v27, v34
	v_sub_f32_e32 v29, v30, v35
	v_add_f32_e32 v30, v28, v32
	v_add_f32_e32 v34, v31, v33
	v_sub_f32_e32 v28, v32, v28
	v_sub_f32_e32 v31, v33, v31
	v_add_f32_e32 v32, v5, v0
	v_fmac_f32_e32 v95, 0xbee1c552, v38
	v_add_f32_e32 v33, v26, v1
	v_sub_f32_e32 v35, v5, v0
	v_sub_f32_e32 v0, v0, v30
	;; [unrolled: 1-line block ×3, first 2 shown]
	v_add_f32_e32 v38, v31, v29
	v_add_f32_e32 v30, v30, v32
	;; [unrolled: 1-line block ×3, first 2 shown]
	v_sub_f32_e32 v55, v41, v94
	v_sub_f32_e32 v46, v40, v95
	v_add_f32_e32 v47, v94, v41
	v_add_f32_e32 v37, v28, v27
	v_sub_f32_e32 v40, v28, v27
	v_sub_f32_e32 v41, v31, v29
	;; [unrolled: 1-line block ×4, first 2 shown]
	v_add_f32_e32 v32, v34, v33
	v_add_f32_e32 v3, v38, v3
	v_add_f32_e32 v38, v30, v64
	v_sub_f32_e32 v36, v26, v1
	v_sub_f32_e32 v1, v1, v34
	;; [unrolled: 1-line block ×5, first 2 shown]
	v_add_f32_e32 v2, v37, v2
	v_add_f32_e32 v39, v32, v65
	v_mul_f32_e32 v0, 0x3f4a47b2, v0
	v_mul_f32_e32 v37, 0x3f08b237, v40
	;; [unrolled: 1-line block ×4, first 2 shown]
	v_mov_b32_e32 v41, v38
	v_mul_f32_e32 v1, 0x3f4a47b2, v1
	v_mul_f32_e32 v33, 0x3d64c772, v5
	;; [unrolled: 1-line block ×4, first 2 shown]
	v_fmac_f32_e32 v41, 0xbf955555, v30
	v_mov_b32_e32 v30, v39
	v_fmamk_f32 v5, v5, 0x3d64c772, v0
	v_fma_f32 v0, 0xbf3bfb3b, v35, -v0
	v_fmamk_f32 v93, v31, 0xbeae86e6, v40
	v_fmac_f32_e32 v65, 0x3eae86e6, v31
	v_fmac_f32_e32 v30, 0xbf955555, v32
	v_fmamk_f32 v26, v26, 0x3d64c772, v1
	v_fma_f32 v32, 0x3f3bfb3b, v35, -v33
	v_fma_f32 v33, 0x3f3bfb3b, v36, -v34
	;; [unrolled: 1-line block ×5, first 2 shown]
	v_fmac_f32_e32 v64, 0x3eae86e6, v28
	v_add_f32_e32 v5, v5, v41
	v_add_f32_e32 v0, v0, v41
	v_fmac_f32_e32 v93, 0xbee1c552, v3
	v_fmac_f32_e32 v65, 0xbee1c552, v3
	v_fmamk_f32 v92, v28, 0xbeae86e6, v37
	v_add_f32_e32 v26, v26, v30
	v_add_f32_e32 v28, v32, v41
	v_add_f32_e32 v31, v33, v30
	v_add_f32_e32 v1, v1, v30
	v_fmac_f32_e32 v27, 0xbee1c552, v2
	v_fmac_f32_e32 v29, 0xbee1c552, v3
	;; [unrolled: 1-line block ×3, first 2 shown]
	v_add_f32_e32 v40, v93, v5
	v_add_f32_e32 v34, v65, v0
	v_sub_f32_e32 v30, v0, v65
	v_sub_f32_e32 v32, v5, v93
	v_add_f32_e32 v0, v14, v24
	v_add_f32_e32 v5, v15, v22
	v_fmac_f32_e32 v92, 0xbee1c552, v2
	v_sub_f32_e32 v35, v1, v64
	v_sub_f32_e32 v36, v28, v29
	v_add_f32_e32 v37, v27, v31
	v_add_f32_e32 v28, v29, v28
	v_sub_f32_e32 v29, v31, v27
	v_add_f32_e32 v31, v64, v1
	v_add_f32_e32 v1, v17, v25
	v_sub_f32_e32 v2, v14, v24
	v_sub_f32_e32 v3, v17, v25
	v_add_f32_e32 v14, v18, v23
	v_sub_f32_e32 v15, v15, v22
	v_sub_f32_e32 v17, v18, v23
	v_add_f32_e32 v18, v16, v20
	v_sub_f32_e32 v16, v20, v16
	v_add_f32_e32 v20, v5, v0
	v_add_f32_e32 v22, v19, v21
	v_sub_f32_e32 v19, v21, v19
	v_add_f32_e32 v21, v14, v1
	v_sub_f32_e32 v23, v5, v0
	v_sub_f32_e32 v0, v0, v18
	;; [unrolled: 1-line block ×3, first 2 shown]
	v_add_f32_e32 v24, v16, v15
	v_add_f32_e32 v18, v18, v20
	;; [unrolled: 1-line block ×3, first 2 shown]
	v_sub_f32_e32 v27, v16, v15
	v_sub_f32_e32 v16, v2, v16
	;; [unrolled: 1-line block ×3, first 2 shown]
	v_add_f32_e32 v20, v22, v21
	v_add_f32_e32 v2, v24, v2
	;; [unrolled: 1-line block ×3, first 2 shown]
	v_sub_f32_e32 v41, v26, v92
	v_add_f32_e32 v33, v92, v26
	v_sub_f32_e32 v26, v14, v1
	v_sub_f32_e32 v1, v1, v22
	;; [unrolled: 1-line block ×6, first 2 shown]
	v_add_f32_e32 v3, v25, v3
	v_add_f32_e32 v25, v20, v67
	v_mov_b32_e32 v67, v24
	v_mul_f32_e32 v0, 0x3f4a47b2, v0
	v_mul_f32_e32 v1, 0x3f4a47b2, v1
	;; [unrolled: 1-line block ×8, first 2 shown]
	v_fmac_f32_e32 v67, 0xbf955555, v18
	v_mov_b32_e32 v18, v25
	v_fmamk_f32 v5, v5, 0x3d64c772, v0
	v_fmamk_f32 v14, v14, 0x3d64c772, v1
	v_fma_f32 v0, 0xbf3bfb3b, v23, -v0
	v_fma_f32 v1, 0xbf3bfb3b, v26, -v1
	v_fmac_f32_e32 v18, 0xbf955555, v20
	v_fma_f32 v20, 0x3f3bfb3b, v23, -v21
	v_fma_f32 v21, 0x3f3bfb3b, v26, -v22
	;; [unrolled: 1-line block ×4, first 2 shown]
	v_fmac_f32_e32 v65, 0x3eae86e6, v16
	v_fmac_f32_e32 v66, 0x3eae86e6, v19
	v_fmamk_f32 v92, v16, 0xbeae86e6, v27
	v_fmamk_f32 v93, v19, 0xbeae86e6, v64
	v_add_f32_e32 v19, v14, v18
	v_add_f32_e32 v14, v20, v67
	;; [unrolled: 1-line block ×5, first 2 shown]
	v_fmac_f32_e32 v15, 0xbee1c552, v2
	v_fmac_f32_e32 v17, 0xbee1c552, v3
	;; [unrolled: 1-line block ×4, first 2 shown]
	v_add_f32_e32 v5, v5, v67
	v_fmac_f32_e32 v93, 0xbee1c552, v3
	v_sub_f32_e32 v22, v14, v17
	v_sub_f32_e32 v21, v1, v65
	v_add_f32_e32 v20, v66, v0
	v_add_f32_e32 v23, v15, v16
	;; [unrolled: 1-line block ×3, first 2 shown]
	v_sub_f32_e32 v15, v16, v15
	v_sub_f32_e32 v16, v0, v66
	v_add_f32_e32 v17, v65, v1
	v_add_f32_e32 v0, v6, v98
	;; [unrolled: 1-line block ×3, first 2 shown]
	v_sub_f32_e32 v3, v9, v4
	v_add_f32_e32 v4, v7, v86
	v_add_f32_e32 v26, v93, v5
	v_sub_f32_e32 v18, v5, v93
	v_add_f32_e32 v5, v10, v87
	v_add_f32_e32 v9, v8, v12
	v_sub_f32_e32 v8, v12, v8
	v_add_f32_e32 v12, v4, v0
	v_fmac_f32_e32 v92, 0xbee1c552, v2
	v_sub_f32_e32 v2, v6, v98
	v_sub_f32_e32 v6, v7, v86
	;; [unrolled: 1-line block ×3, first 2 shown]
	v_add_f32_e32 v10, v11, v13
	v_sub_f32_e32 v11, v13, v11
	v_add_f32_e32 v13, v5, v1
	v_sub_f32_e32 v64, v4, v0
	v_sub_f32_e32 v0, v0, v9
	;; [unrolled: 1-line block ×3, first 2 shown]
	v_add_f32_e32 v9, v9, v12
	v_sub_f32_e32 v65, v5, v1
	v_sub_f32_e32 v1, v1, v10
	v_sub_f32_e32 v5, v10, v5
	v_add_f32_e32 v66, v8, v6
	v_sub_f32_e32 v87, v11, v7
	v_add_f32_e32 v12, v10, v13
	v_add_f32_e32 v10, v9, v60
	v_sub_f32_e32 v27, v19, v92
	v_add_f32_e32 v19, v92, v19
	v_add_f32_e32 v67, v11, v7
	v_sub_f32_e32 v86, v8, v6
	v_sub_f32_e32 v8, v2, v8
	v_sub_f32_e32 v92, v3, v11
	v_sub_f32_e32 v6, v6, v2
	v_add_f32_e32 v2, v66, v2
	v_add_f32_e32 v11, v12, v61
	v_mul_f32_e32 v66, 0x3f08b237, v87
	v_mov_b32_e32 v87, v10
	v_sub_f32_e32 v7, v7, v3
	v_add_f32_e32 v3, v67, v3
	v_mul_f32_e32 v1, 0x3f4a47b2, v1
	v_mul_f32_e32 v13, 0x3d64c772, v4
	;; [unrolled: 1-line block ×5, first 2 shown]
	v_fmac_f32_e32 v87, 0xbf955555, v9
	v_mov_b32_e32 v9, v11
	v_mul_f32_e32 v0, 0x3f4a47b2, v0
	v_mul_f32_e32 v86, 0x3f5ff5aa, v7
	v_fmamk_f32 v5, v5, 0x3d64c772, v1
	v_fma_f32 v1, 0xbf3bfb3b, v65, -v1
	v_fmac_f32_e32 v9, 0xbf955555, v12
	v_fma_f32 v12, 0x3f3bfb3b, v64, -v13
	v_fma_f32 v13, 0x3f3bfb3b, v65, -v60
	v_fmamk_f32 v60, v8, 0xbeae86e6, v61
	v_fma_f32 v61, 0xbf5ff5aa, v6, -v61
	v_fmac_f32_e32 v67, 0x3eae86e6, v8
	v_fmamk_f32 v4, v4, 0x3d64c772, v0
	v_fma_f32 v0, 0xbf3bfb3b, v64, -v0
	v_fmamk_f32 v64, v92, 0xbeae86e6, v66
	v_fma_f32 v65, 0xbf5ff5aa, v7, -v66
	v_fmac_f32_e32 v86, 0x3eae86e6, v92
	v_add_f32_e32 v92, v5, v9
	v_add_f32_e32 v5, v13, v9
	;; [unrolled: 1-line block ×3, first 2 shown]
	v_fmac_f32_e32 v60, 0xbee1c552, v2
	v_fmac_f32_e32 v61, 0xbee1c552, v2
	;; [unrolled: 1-line block ×3, first 2 shown]
	ds_write2_b64 v100, v[90:91], v[84:85] offset1:49
	ds_write2_b64 v100, v[80:81], v[82:83] offset0:98 offset1:147
	ds_write2_b64 v100, v[76:77], v[78:79] offset0:196 offset1:245
	;; [unrolled: 1-line block ×6, first 2 shown]
	v_fmac_f32_e32 v64, 0xbee1c552, v3
	v_fmac_f32_e32 v65, 0xbee1c552, v3
	;; [unrolled: 1-line block ×3, first 2 shown]
	v_sub_f32_e32 v13, v92, v60
	v_sub_f32_e32 v7, v1, v67
	v_add_f32_e32 v9, v61, v5
	v_sub_f32_e32 v3, v5, v61
	v_add_f32_e32 v5, v67, v1
	v_add_f32_e32 v1, v60, v92
	buffer_load_dword v60, off, s[16:19], 0 offset:488 ; 4-byte Folded Reload
	v_add_f32_e32 v66, v4, v87
	v_add_f32_e32 v4, v12, v87
	;; [unrolled: 1-line block ×4, first 2 shown]
	v_sub_f32_e32 v8, v4, v65
	v_add_f32_e32 v6, v86, v0
	v_add_f32_e32 v2, v65, v4
	v_sub_f32_e32 v4, v0, v86
	v_sub_f32_e32 v0, v66, v64
	s_waitcnt vmcnt(0)
	ds_write2_b64 v60, v[74:75], v[88:89] offset0:174 offset1:223
	buffer_load_dword v60, off, s[16:19], 0 offset:496 ; 4-byte Folded Reload
	s_waitcnt vmcnt(0)
	ds_write2_b64 v60, v[68:69], v[70:71] offset0:16 offset1:65
	ds_write2_b64 v60, v[56:57], v[58:59] offset0:114 offset1:163
	buffer_load_dword v56, off, s[16:19], 0 offset:492 ; 4-byte Folded Reload
	s_waitcnt vmcnt(0)
	ds_write_b64 v56, v[62:63] offset:7840
	buffer_load_dword v56, off, s[16:19], 0 offset:500 ; 4-byte Folded Reload
	s_waitcnt vmcnt(0)
	ds_write2_b64 v56, v[52:53], v[54:55] offset0:5 offset1:54
	ds_write2_b64 v56, v[48:49], v[50:51] offset0:103 offset1:152
	;; [unrolled: 1-line block ×3, first 2 shown]
	buffer_load_dword v42, off, s[16:19], 0 offset:484 ; 4-byte Folded Reload
	s_waitcnt vmcnt(0)
	ds_write_b64 v42, v[46:47] offset:10584
	buffer_load_dword v42, off, s[16:19], 0 offset:420 ; 4-byte Folded Reload
	s_waitcnt vmcnt(0)
	ds_write2_b64 v42, v[38:39], v[40:41] offset0:92 offset1:141
	ds_write2_b64 v42, v[34:35], v[36:37] offset0:190 offset1:239
	buffer_load_dword v34, off, s[16:19], 0 offset:408 ; 4-byte Folded Reload
	s_waitcnt vmcnt(0)
	ds_write2_b64 v34, v[28:29], v[30:31] offset0:32 offset1:81
	buffer_load_dword v28, off, s[16:19], 0 offset:404 ; 4-byte Folded Reload
	s_waitcnt vmcnt(0)
	ds_write_b64 v28, v[32:33] offset:13328
	buffer_load_dword v28, off, s[16:19], 0 offset:412 ; 4-byte Folded Reload
	s_waitcnt vmcnt(0)
	ds_write2_b64 v28, v[24:25], v[26:27] offset0:179 offset1:228
	buffer_load_dword v24, off, s[16:19], 0 offset:424 ; 4-byte Folded Reload
	s_waitcnt vmcnt(0)
	ds_write2_b64 v24, v[20:21], v[22:23] offset0:21 offset1:70
	ds_write2_b64 v24, v[14:15], v[16:17] offset0:119 offset1:168
	buffer_load_dword v14, off, s[16:19], 0 offset:416 ; 4-byte Folded Reload
	s_waitcnt vmcnt(0)
	ds_write_b64 v14, v[18:19] offset:16072
	buffer_load_dword v14, off, s[16:19], 0 offset:432 ; 4-byte Folded Reload
	s_waitcnt vmcnt(0)
	ds_write2_b64 v14, v[10:11], v[12:13] offset0:10 offset1:59
	ds_write2_b64 v14, v[6:7], v[8:9] offset0:108 offset1:157
	;; [unrolled: 1-line block ×3, first 2 shown]
	buffer_load_dword v2, off, s[16:19], 0 offset:428 ; 4-byte Folded Reload
	s_waitcnt vmcnt(0)
	ds_write_b64 v2, v[0:1] offset:18816
	s_waitcnt lgkmcnt(0)
	s_barrier
	buffer_gl0_inv
	ds_read2_b64 v[8:11], v100 offset1:49
	ds_read2_b64 v[0:3], v221 offset0:38 offset1:87
	ds_read2_b64 v[14:17], v223 offset0:174 offset1:223
	;; [unrolled: 1-line block ×23, first 2 shown]
	ds_read_b64 v[12:13], v100 offset:18816
	s_clause 0x7
	buffer_load_dword v40, off, s[16:19], 0 offset:468
	buffer_load_dword v41, off, s[16:19], 0 offset:472
	;; [unrolled: 1-line block ×8, first 2 shown]
	s_waitcnt lgkmcnt(19)
	v_mul_f32_e32 v34, v183, v36
	v_mul_f32_e32 v26, v187, v28
	v_fmac_f32_e32 v34, v182, v35
	v_mul_f32_e32 v35, v183, v35
	v_fma_f32 v35, v182, v36, -v35
	s_waitcnt vmcnt(6)
	v_mul_f32_e32 v44, v41, v3
	s_waitcnt vmcnt(2)
	v_mul_f32_e32 v32, v53, v31
	v_fmac_f32_e32 v44, v40, v2
	v_mul_f32_e32 v2, v41, v2
	v_mul_f32_e32 v41, v43, v15
	v_fmac_f32_e32 v32, v52, v30
	v_fma_f32 v45, v40, v3, -v2
	v_mul_f32_e32 v2, v43, v14
	s_waitcnt vmcnt(0)
	v_mul_f32_e32 v40, v55, v19
	v_fmac_f32_e32 v41, v42, v14
	s_waitcnt lgkmcnt(3)
	v_mul_f32_e32 v3, v121, v132
	v_fma_f32 v43, v42, v15, -v2
	v_mul_f32_e32 v2, v53, v30
	v_fmac_f32_e32 v40, v54, v18
	v_mul_f32_e32 v30, v127, v116
	v_fma_f32 v33, v52, v31, -v2
	v_mul_f32_e32 v2, v55, v18
	v_fmac_f32_e32 v30, v126, v115
	v_fma_f32 v42, v54, v19, -v2
	s_clause 0x3
	buffer_load_dword v52, off, s[16:19], 0 offset:436
	buffer_load_dword v53, off, s[16:19], 0 offset:440
	;; [unrolled: 1-line block ×4, first 2 shown]
	s_waitcnt vmcnt(2)
	v_mul_f32_e32 v46, v53, v38
	v_mul_f32_e32 v2, v53, v37
	v_fmac_f32_e32 v46, v52, v37
	v_fma_f32 v47, v52, v38, -v2
	s_waitcnt vmcnt(0)
	v_mul_f32_e32 v52, v55, v23
	v_mul_f32_e32 v2, v55, v22
	v_fmac_f32_e32 v52, v54, v22
	v_fma_f32 v53, v54, v23, -v2
	s_clause 0x3
	buffer_load_dword v54, off, s[16:19], 0 offset:504
	buffer_load_dword v55, off, s[16:19], 0 offset:508
	;; [unrolled: 1-line block ×4, first 2 shown]
	s_waitcnt vmcnt(2)
	v_mul_f32_e32 v2, v55, v64
	s_waitcnt vmcnt(0)
	v_mul_f32_e32 v59, v57, v17
	v_mul_f32_e32 v62, v55, v65
	v_fma_f32 v63, v54, v65, -v2
	v_mul_f32_e32 v2, v57, v16
	v_fmac_f32_e32 v59, v56, v16
	v_fmac_f32_e32 v62, v54, v64
	v_fma_f32 v61, v56, v17, -v2
	s_clause 0x3
	buffer_load_dword v14, off, s[16:19], 0 offset:520
	buffer_load_dword v15, off, s[16:19], 0 offset:524
	;; [unrolled: 1-line block ×4, first 2 shown]
	s_waitcnt vmcnt(2)
	v_mul_f32_e32 v2, v15, v71
	v_mul_f32_e32 v56, v15, v72
	s_waitcnt vmcnt(0)
	v_mul_f32_e32 v58, v17, v21
	v_fma_f32 v57, v14, v72, -v2
	v_mul_f32_e32 v2, v17, v20
	v_fmac_f32_e32 v56, v14, v71
	v_fmac_f32_e32 v58, v16, v20
	v_fma_f32 v60, v16, v21, -v2
	s_clause 0x3
	buffer_load_dword v14, off, s[16:19], 0 offset:536
	buffer_load_dword v15, off, s[16:19], 0 offset:540
	buffer_load_dword v16, off, s[16:19], 0 offset:544
	buffer_load_dword v17, off, s[16:19], 0 offset:548
	s_waitcnt vmcnt(2)
	v_mul_f32_e32 v2, v15, v75
	v_mul_f32_e32 v64, v15, v76
	s_waitcnt vmcnt(0)
	v_mul_f32_e32 v82, v17, v25
	v_fma_f32 v65, v14, v76, -v2
	v_mul_f32_e32 v2, v17, v24
	v_fmac_f32_e32 v64, v14, v75
	v_fmac_f32_e32 v82, v16, v24
	v_mul_f32_e32 v24, v127, v115
	v_fma_f32 v83, v16, v25, -v2
	s_clause 0x3
	buffer_load_dword v14, off, s[16:19], 0 offset:568
	buffer_load_dword v15, off, s[16:19], 0 offset:572
	;; [unrolled: 1-line block ×4, first 2 shown]
	v_mul_f32_e32 v25, v185, v134
	v_fma_f32 v31, v126, v116, -v24
	v_fma_f32 v27, v184, v135, -v25
	v_mul_f32_e32 v25, v187, v29
	v_fmac_f32_e32 v25, v186, v28
	v_fma_f32 v28, v186, v29, -v26
	s_waitcnt lgkmcnt(2)
	v_mul_f32_e32 v26, v181, v139
	v_mul_f32_e32 v29, v181, v138
	v_fmac_f32_e32 v26, v180, v138
	v_fma_f32 v29, v180, v139, -v29
	s_waitcnt vmcnt(2)
	v_mul_f32_e32 v2, v15, v66
	v_mul_f32_e32 v68, v15, v67
	s_waitcnt vmcnt(0)
	v_mul_f32_e32 v69, v17, v85
	v_fma_f32 v71, v14, v67, -v2
	v_mul_f32_e32 v2, v17, v84
	v_fmac_f32_e32 v68, v14, v66
	v_fmac_f32_e32 v69, v16, v84
	v_fma_f32 v72, v16, v85, -v2
	s_clause 0x3
	buffer_load_dword v14, off, s[16:19], 0 offset:552
	buffer_load_dword v15, off, s[16:19], 0 offset:556
	;; [unrolled: 1-line block ×4, first 2 shown]
	s_waitcnt vmcnt(2)
	v_mul_f32_e32 v70, v15, v74
	v_mul_f32_e32 v2, v15, v73
	v_fmac_f32_e32 v70, v14, v73
	v_fma_f32 v73, v14, v74, -v2
	s_waitcnt vmcnt(0)
	v_mul_f32_e32 v74, v17, v89
	v_mul_f32_e32 v2, v17, v88
	v_fmac_f32_e32 v74, v16, v88
	v_fma_f32 v75, v16, v89, -v2
	s_clause 0x3
	buffer_load_dword v14, off, s[16:19], 0 offset:584
	buffer_load_dword v15, off, s[16:19], 0 offset:588
	;; [unrolled: 1-line block ×4, first 2 shown]
	s_waitcnt vmcnt(2)
	v_mul_f32_e32 v76, v15, v78
	v_mul_f32_e32 v2, v15, v77
	v_fmac_f32_e32 v76, v14, v77
	v_fma_f32 v77, v14, v78, -v2
	s_waitcnt vmcnt(0)
	v_mul_f32_e32 v78, v17, v93
	v_mul_f32_e32 v2, v17, v92
	v_fmac_f32_e32 v78, v16, v92
	v_fma_f32 v79, v16, v93, -v2
	s_clause 0x3
	buffer_load_dword v14, off, s[16:19], 0 offset:648
	buffer_load_dword v15, off, s[16:19], 0 offset:652
	;; [unrolled: 1-line block ×4, first 2 shown]
	s_waitcnt vmcnt(2)
	v_mul_f32_e32 v2, v15, v96
	v_mul_f32_e32 v38, v15, v97
	s_waitcnt vmcnt(0)
	v_mul_f32_e32 v39, v17, v87
	v_fma_f32 v81, v14, v97, -v2
	v_mul_f32_e32 v2, v17, v86
	v_fmac_f32_e32 v38, v14, v96
	v_fmac_f32_e32 v39, v16, v86
	v_fma_f32 v84, v16, v87, -v2
	s_clause 0x3
	buffer_load_dword v14, off, s[16:19], 0 offset:696
	buffer_load_dword v15, off, s[16:19], 0 offset:700
	;; [unrolled: 1-line block ×4, first 2 shown]
	s_waitcnt vmcnt(2)
	v_mul_f32_e32 v2, v15, v101
	v_mul_f32_e32 v80, v15, v102
	s_waitcnt vmcnt(0)
	v_mul_f32_e32 v86, v17, v91
	v_fma_f32 v85, v14, v102, -v2
	v_mul_f32_e32 v2, v17, v90
	v_fmac_f32_e32 v80, v14, v101
	v_fmac_f32_e32 v86, v16, v90
	v_fma_f32 v87, v16, v91, -v2
	s_clause 0x3
	buffer_load_dword v14, off, s[16:19], 0 offset:712
	buffer_load_dword v15, off, s[16:19], 0 offset:716
	;; [unrolled: 1-line block ×4, first 2 shown]
	s_waitcnt vmcnt(2)
	v_mul_f32_e32 v2, v15, v105
	s_waitcnt vmcnt(0)
	v_mul_f32_e32 v96, v17, v95
	v_mul_f32_e32 v88, v15, v106
	v_fma_f32 v89, v14, v106, -v2
	v_mul_f32_e32 v2, v17, v94
	v_fmac_f32_e32 v96, v16, v94
	v_fmac_f32_e32 v88, v14, v105
	v_fma_f32 v97, v16, v95, -v2
	s_clause 0x3
	buffer_load_dword v15, off, s[16:19], 0 offset:728
	buffer_load_dword v16, off, s[16:19], 0 offset:732
	;; [unrolled: 1-line block ×4, first 2 shown]
	s_waitcnt vmcnt(2)
	v_mul_f32_e32 v14, v16, v99
	v_mul_f32_e32 v2, v16, v98
	v_fmac_f32_e32 v14, v15, v98
	v_fma_f32 v21, v15, v99, -v2
	s_waitcnt vmcnt(0)
	v_mul_f32_e32 v15, v18, v110
	v_mul_f32_e32 v2, v18, v109
	v_fmac_f32_e32 v15, v17, v109
	v_fma_f32 v22, v17, v110, -v2
	s_clause 0x3
	buffer_load_dword v16, off, s[16:19], 0 offset:744
	buffer_load_dword v17, off, s[16:19], 0 offset:748
	;; [unrolled: 1-line block ×4, first 2 shown]
	s_waitcnt vmcnt(2)
	v_mul_f32_e32 v2, v17, v103
	v_mul_f32_e32 v20, v17, v104
	s_waitcnt vmcnt(0)
	v_mul_f32_e32 v66, v19, v114
	v_fma_f32 v23, v16, v104, -v2
	v_mul_f32_e32 v2, v19, v113
	v_fmac_f32_e32 v20, v16, v103
	v_fmac_f32_e32 v66, v18, v113
	v_fma_f32 v67, v18, v114, -v2
	s_clause 0x7
	buffer_load_dword v16, off, s[16:19], 0 offset:760
	buffer_load_dword v17, off, s[16:19], 0 offset:764
	;; [unrolled: 1-line block ×8, first 2 shown]
	s_waitcnt vmcnt(6)
	v_mul_f32_e32 v92, v17, v108
	v_mul_f32_e32 v2, v17, v107
	s_waitcnt vmcnt(2) lgkmcnt(1)
	v_mul_f32_e32 v101, v103, v141
	v_mul_f32_e32 v24, v103, v140
	s_waitcnt vmcnt(0)
	v_mul_f32_e32 v103, v105, v131
	v_fmac_f32_e32 v92, v16, v107
	v_fma_f32 v93, v16, v108, -v2
	v_fmac_f32_e32 v101, v102, v140
	v_fma_f32 v102, v102, v141, -v24
	v_mul_f32_e32 v24, v105, v130
	s_clause 0x3
	buffer_load_dword v105, off, s[16:19], 0 offset:944
	buffer_load_dword v106, off, s[16:19], 0 offset:948
	;; [unrolled: 1-line block ×4, first 2 shown]
	v_mul_f32_e32 v94, v19, v129
	v_mul_f32_e32 v2, v19, v128
	v_fma_f32 v17, v120, v133, -v3
	v_mul_f32_e32 v3, v123, v112
	v_mul_f32_e32 v16, v123, v111
	v_fmac_f32_e32 v94, v18, v128
	v_fma_f32 v95, v18, v129, -v2
	v_mul_f32_e32 v2, v121, v133
	v_fmac_f32_e32 v3, v122, v111
	v_fma_f32 v18, v122, v112, -v16
	v_mul_f32_e32 v16, v125, v137
	v_fmac_f32_e32 v103, v104, v130
	v_fmac_f32_e32 v2, v120, v132
	v_mul_f32_e32 v19, v125, v136
	v_fma_f32 v104, v104, v131, -v24
	v_fmac_f32_e32 v16, v124, v136
	v_mul_f32_e32 v24, v185, v135
	v_fma_f32 v19, v124, v137, -v19
	v_fmac_f32_e32 v24, v184, v134
	s_waitcnt vmcnt(0)
	v_mov_b32_e32 v54, v107
	v_mul_f32_e32 v36, v106, v143
	v_mul_f32_e32 v37, v106, v142
	v_mov_b32_e32 v55, v108
	v_fmac_f32_e32 v36, v105, v142
	v_fma_f32 v37, v105, v143, -v37
	s_waitcnt lgkmcnt(0)
	v_mul_f32_e32 v105, v55, v13
	v_fmac_f32_e32 v105, v54, v12
	v_mul_f32_e32 v12, v55, v12
	v_fma_f32 v106, v54, v13, -v12
	v_add_f32_e32 v12, v44, v52
	v_sub_f32_e32 v44, v44, v52
	v_add_f32_e32 v52, v41, v46
	v_add_f32_e32 v13, v45, v53
	v_sub_f32_e32 v45, v45, v53
	v_add_f32_e32 v53, v43, v47
	v_sub_f32_e32 v41, v41, v46
	;; [unrolled: 2-line block ×5, first 2 shown]
	v_add_f32_e32 v42, v53, v13
	v_add_f32_e32 v40, v46, v40
	;; [unrolled: 1-line block ×3, first 2 shown]
	v_sub_f32_e32 v98, v32, v41
	v_sub_f32_e32 v107, v44, v32
	v_add_f32_e32 v42, v47, v42
	v_add_f32_e32 v32, v40, v8
	v_sub_f32_e32 v54, v52, v12
	v_sub_f32_e32 v12, v12, v46
	v_sub_f32_e32 v52, v46, v52
	v_add_f32_e32 v91, v33, v43
	v_sub_f32_e32 v99, v33, v43
	v_sub_f32_e32 v108, v45, v33
	;; [unrolled: 1-line block ×3, first 2 shown]
	v_add_f32_e32 v33, v42, v9
	v_mul_f32_e32 v46, 0x3f08b237, v98
	v_mov_b32_e32 v98, v32
	v_sub_f32_e32 v55, v53, v13
	v_sub_f32_e32 v13, v13, v47
	;; [unrolled: 1-line block ×4, first 2 shown]
	v_add_f32_e32 v45, v91, v45
	v_mul_f32_e32 v8, 0x3f4a47b2, v12
	v_mul_f32_e32 v12, 0x3d64c772, v52
	;; [unrolled: 1-line block ×4, first 2 shown]
	v_fmac_f32_e32 v98, 0xbf955555, v40
	v_mov_b32_e32 v40, v33
	v_add_f32_e32 v44, v90, v44
	v_mul_f32_e32 v9, 0x3f4a47b2, v13
	v_mul_f32_e32 v13, 0x3d64c772, v53
	;; [unrolled: 1-line block ×3, first 2 shown]
	v_fmac_f32_e32 v40, 0xbf955555, v42
	v_fmamk_f32 v42, v52, 0x3d64c772, v8
	v_fma_f32 v12, 0x3f3bfb3b, v54, -v12
	v_fma_f32 v8, 0xbf3bfb3b, v54, -v8
	;; [unrolled: 1-line block ×3, first 2 shown]
	v_fmac_f32_e32 v91, 0x3eae86e6, v108
	v_fmamk_f32 v52, v53, 0x3d64c772, v9
	v_fma_f32 v13, 0x3f3bfb3b, v55, -v13
	v_fma_f32 v9, 0xbf3bfb3b, v55, -v9
	v_fmamk_f32 v99, v107, 0xbeae86e6, v46
	v_fma_f32 v41, 0xbf5ff5aa, v41, -v46
	v_fmac_f32_e32 v90, 0x3eae86e6, v107
	v_add_f32_e32 v12, v12, v98
	v_add_f32_e32 v8, v8, v98
	v_fmac_f32_e32 v43, 0xbee1c552, v45
	v_fmac_f32_e32 v91, 0xbee1c552, v45
	v_fmamk_f32 v109, v108, 0xbeae86e6, v47
	v_add_f32_e32 v107, v42, v98
	v_add_f32_e32 v108, v52, v40
	;; [unrolled: 1-line block ×4, first 2 shown]
	v_fmac_f32_e32 v99, 0xbee1c552, v44
	v_fmac_f32_e32 v41, 0xbee1c552, v44
	;; [unrolled: 1-line block ×3, first 2 shown]
	v_add_f32_e32 v52, v91, v8
	v_sub_f32_e32 v46, v12, v43
	v_add_f32_e32 v44, v43, v12
	v_sub_f32_e32 v42, v8, v91
	;; [unrolled: 2-line block ×3, first 2 shown]
	v_add_f32_e32 v62, v59, v64
	v_fmac_f32_e32 v109, 0xbee1c552, v45
	v_sub_f32_e32 v53, v9, v90
	v_add_f32_e32 v47, v41, v13
	v_sub_f32_e32 v45, v13, v41
	v_add_f32_e32 v43, v90, v9
	v_add_f32_e32 v9, v63, v83
	v_sub_f32_e32 v13, v63, v83
	v_add_f32_e32 v63, v61, v65
	v_sub_f32_e32 v59, v59, v64
	;; [unrolled: 2-line block ×5, first 2 shown]
	v_add_f32_e32 v60, v63, v9
	v_add_f32_e32 v82, v56, v59
	v_add_f32_e32 v58, v64, v58
	v_sub_f32_e32 v98, v56, v59
	v_add_f32_e32 v83, v57, v61
	v_sub_f32_e32 v56, v12, v56
	v_sub_f32_e32 v59, v59, v12
	v_add_f32_e32 v60, v65, v60
	v_add_f32_e32 v12, v82, v12
	;; [unrolled: 1-line block ×4, first 2 shown]
	v_sub_f32_e32 v55, v108, v99
	v_sub_f32_e32 v40, v107, v109
	v_add_f32_e32 v41, v99, v108
	v_sub_f32_e32 v90, v62, v8
	v_sub_f32_e32 v8, v8, v64
	;; [unrolled: 1-line block ×5, first 2 shown]
	v_add_f32_e32 v13, v83, v13
	v_add_f32_e32 v83, v60, v11
	v_mov_b32_e32 v107, v82
	v_sub_f32_e32 v91, v63, v9
	v_sub_f32_e32 v9, v9, v65
	;; [unrolled: 1-line block ×4, first 2 shown]
	v_mul_f32_e32 v8, 0x3f4a47b2, v8
	v_mul_f32_e32 v65, 0x3f08b237, v99
	;; [unrolled: 1-line block ×3, first 2 shown]
	v_fmac_f32_e32 v107, 0xbf955555, v58
	v_mov_b32_e32 v58, v83
	v_mul_f32_e32 v9, 0x3f4a47b2, v9
	v_mul_f32_e32 v10, 0x3d64c772, v62
	v_mul_f32_e32 v11, 0x3d64c772, v63
	v_mul_f32_e32 v64, 0x3f08b237, v98
	v_mul_f32_e32 v98, 0x3f5ff5aa, v59
	v_fmac_f32_e32 v58, 0xbf955555, v60
	v_fmamk_f32 v60, v62, 0x3d64c772, v8
	v_fma_f32 v8, 0xbf3bfb3b, v90, -v8
	v_fmac_f32_e32 v99, 0x3eae86e6, v57
	v_fmamk_f32 v62, v63, 0x3d64c772, v9
	v_fma_f32 v10, 0x3f3bfb3b, v90, -v10
	v_fma_f32 v11, 0x3f3bfb3b, v91, -v11
	;; [unrolled: 1-line block ×3, first 2 shown]
	v_fmamk_f32 v108, v56, 0xbeae86e6, v64
	v_fma_f32 v63, 0xbf5ff5aa, v59, -v64
	v_fma_f32 v61, 0xbf5ff5aa, v61, -v65
	v_fmac_f32_e32 v98, 0x3eae86e6, v56
	v_add_f32_e32 v8, v8, v107
	v_fmac_f32_e32 v99, 0xbee1c552, v13
	v_fmamk_f32 v109, v57, 0xbeae86e6, v65
	v_add_f32_e32 v65, v62, v58
	v_add_f32_e32 v10, v10, v107
	;; [unrolled: 1-line block ×4, first 2 shown]
	v_fmac_f32_e32 v108, 0xbee1c552, v12
	v_fmac_f32_e32 v63, 0xbee1c552, v12
	;; [unrolled: 1-line block ×4, first 2 shown]
	v_add_f32_e32 v56, v99, v8
	v_sub_f32_e32 v62, v8, v99
	v_add_f32_e32 v8, v68, v78
	v_add_f32_e32 v12, v69, v76
	;; [unrolled: 1-line block ×3, first 2 shown]
	v_fmac_f32_e32 v109, 0xbee1c552, v13
	v_sub_f32_e32 v57, v9, v98
	v_sub_f32_e32 v58, v10, v61
	v_add_f32_e32 v59, v63, v11
	v_add_f32_e32 v60, v61, v10
	v_sub_f32_e32 v61, v11, v63
	v_add_f32_e32 v63, v98, v9
	v_add_f32_e32 v9, v71, v79
	;; [unrolled: 3-line block ×3, first 2 shown]
	v_sub_f32_e32 v70, v74, v70
	v_add_f32_e32 v74, v12, v8
	v_sub_f32_e32 v10, v68, v78
	v_sub_f32_e32 v68, v69, v76
	;; [unrolled: 1-line block ×3, first 2 shown]
	v_add_f32_e32 v72, v73, v75
	v_sub_f32_e32 v73, v75, v73
	v_add_f32_e32 v75, v13, v9
	v_sub_f32_e32 v76, v12, v8
	v_sub_f32_e32 v8, v8, v71
	v_sub_f32_e32 v12, v71, v12
	v_add_f32_e32 v71, v71, v74
	v_sub_f32_e32 v77, v13, v9
	v_sub_f32_e32 v9, v9, v72
	v_sub_f32_e32 v13, v72, v13
	v_add_f32_e32 v78, v70, v68
	v_sub_f32_e32 v98, v70, v68
	v_sub_f32_e32 v107, v68, v10
	v_add_f32_e32 v72, v72, v75
	v_add_f32_e32 v68, v71, v4
	v_sub_f32_e32 v91, v65, v108
	v_add_f32_e32 v65, v108, v65
	v_add_f32_e32 v79, v73, v69
	v_sub_f32_e32 v99, v73, v69
	v_sub_f32_e32 v108, v69, v11
	v_add_f32_e32 v69, v72, v5
	v_mul_f32_e32 v74, 0x3f08b237, v98
	v_mov_b32_e32 v98, v68
	v_sub_f32_e32 v73, v11, v73
	v_add_f32_e32 v11, v79, v11
	v_mul_f32_e32 v4, 0x3f4a47b2, v8
	v_mul_f32_e32 v5, 0x3f4a47b2, v9
	;; [unrolled: 1-line block ×5, first 2 shown]
	v_fmac_f32_e32 v98, 0xbf955555, v71
	v_mov_b32_e32 v71, v69
	v_sub_f32_e32 v70, v10, v70
	v_add_f32_e32 v10, v78, v10
	v_mul_f32_e32 v75, 0x3f08b237, v99
	v_mul_f32_e32 v78, 0x3f5ff5aa, v107
	v_fmac_f32_e32 v71, 0xbf955555, v72
	v_fmamk_f32 v12, v12, 0x3d64c772, v4
	v_fma_f32 v8, 0x3f3bfb3b, v76, -v8
	v_fma_f32 v9, 0x3f3bfb3b, v77, -v9
	;; [unrolled: 1-line block ×4, first 2 shown]
	v_fmac_f32_e32 v79, 0x3eae86e6, v73
	v_add_f32_e32 v90, v109, v64
	v_sub_f32_e32 v64, v64, v109
	v_fmamk_f32 v13, v13, 0x3d64c772, v5
	v_fma_f32 v5, 0xbf3bfb3b, v77, -v5
	v_fmamk_f32 v109, v70, 0xbeae86e6, v74
	v_fma_f32 v74, 0xbf5ff5aa, v108, -v75
	v_fmac_f32_e32 v78, 0x3eae86e6, v70
	v_add_f32_e32 v9, v9, v71
	v_add_f32_e32 v4, v4, v98
	v_fmac_f32_e32 v76, 0xbee1c552, v10
	v_fmac_f32_e32 v79, 0xbee1c552, v11
	v_fmamk_f32 v110, v73, 0xbeae86e6, v75
	v_add_f32_e32 v13, v13, v71
	v_add_f32_e32 v8, v8, v98
	;; [unrolled: 1-line block ×3, first 2 shown]
	v_fmac_f32_e32 v109, 0xbee1c552, v10
	v_fmac_f32_e32 v74, 0xbee1c552, v11
	;; [unrolled: 1-line block ×3, first 2 shown]
	v_add_f32_e32 v70, v79, v4
	v_add_f32_e32 v73, v76, v9
	v_sub_f32_e32 v75, v9, v76
	v_sub_f32_e32 v76, v4, v79
	v_add_f32_e32 v4, v38, v96
	v_add_f32_e32 v10, v39, v88
	;; [unrolled: 1-line block ×3, first 2 shown]
	v_fmac_f32_e32 v110, 0xbee1c552, v11
	v_sub_f32_e32 v99, v13, v109
	v_sub_f32_e32 v71, v5, v78
	;; [unrolled: 1-line block ×3, first 2 shown]
	v_add_f32_e32 v74, v74, v8
	v_add_f32_e32 v77, v78, v5
	;; [unrolled: 1-line block ×4, first 2 shown]
	v_sub_f32_e32 v8, v38, v96
	v_add_f32_e32 v11, v84, v89
	v_sub_f32_e32 v13, v84, v89
	v_add_f32_e32 v38, v80, v86
	v_add_f32_e32 v84, v10, v4
	;; [unrolled: 1-line block ×3, first 2 shown]
	v_sub_f32_e32 v78, v12, v110
	v_sub_f32_e32 v9, v81, v97
	;; [unrolled: 1-line block ×3, first 2 shown]
	v_add_f32_e32 v39, v85, v87
	v_sub_f32_e32 v80, v86, v80
	v_sub_f32_e32 v81, v87, v85
	v_add_f32_e32 v85, v11, v5
	v_sub_f32_e32 v86, v10, v4
	v_sub_f32_e32 v4, v4, v38
	v_sub_f32_e32 v10, v38, v10
	v_add_f32_e32 v38, v38, v84
	v_sub_f32_e32 v87, v11, v5
	;; [unrolled: 4-line block ×3, first 2 shown]
	v_sub_f32_e32 v107, v8, v80
	v_add_f32_e32 v39, v39, v85
	v_add_f32_e32 v80, v38, v6
	;; [unrolled: 1-line block ×3, first 2 shown]
	v_sub_f32_e32 v97, v81, v13
	v_sub_f32_e32 v108, v9, v81
	;; [unrolled: 1-line block ×3, first 2 shown]
	v_add_f32_e32 v8, v88, v8
	v_add_f32_e32 v81, v39, v7
	v_mov_b32_e32 v88, v80
	v_mul_f32_e32 v7, 0x3d64c772, v11
	v_mul_f32_e32 v84, 0x3f08b237, v96
	v_sub_f32_e32 v13, v13, v9
	v_mul_f32_e32 v5, 0x3f4a47b2, v5
	v_fmac_f32_e32 v88, 0xbf955555, v38
	v_mov_b32_e32 v38, v81
	v_mul_f32_e32 v6, 0x3d64c772, v10
	v_mul_f32_e32 v85, 0x3f08b237, v97
	;; [unrolled: 1-line block ×3, first 2 shown]
	v_fma_f32 v7, 0x3f3bfb3b, v87, -v7
	v_fmac_f32_e32 v38, 0xbf955555, v39
	v_fma_f32 v12, 0xbf5ff5aa, v12, -v84
	v_add_f32_e32 v9, v89, v9
	v_mul_f32_e32 v4, 0x3f4a47b2, v4
	v_mul_f32_e32 v97, 0x3f5ff5aa, v13
	v_fmamk_f32 v11, v11, 0x3d64c772, v5
	v_fma_f32 v6, 0x3f3bfb3b, v86, -v6
	v_fma_f32 v5, 0xbf3bfb3b, v87, -v5
	v_fmamk_f32 v109, v107, 0xbeae86e6, v84
	v_fma_f32 v13, 0xbf5ff5aa, v13, -v85
	v_fmac_f32_e32 v96, 0x3eae86e6, v107
	v_add_f32_e32 v7, v7, v38
	v_fmac_f32_e32 v12, 0xbee1c552, v8
	v_fmamk_f32 v10, v10, 0x3d64c772, v4
	v_fma_f32 v4, 0xbf3bfb3b, v86, -v4
	v_fmamk_f32 v110, v108, 0xbeae86e6, v85
	v_fmac_f32_e32 v97, 0x3eae86e6, v108
	v_add_f32_e32 v11, v11, v38
	v_add_f32_e32 v6, v6, v88
	;; [unrolled: 1-line block ×3, first 2 shown]
	v_fmac_f32_e32 v109, 0xbee1c552, v8
	v_fmac_f32_e32 v13, 0xbee1c552, v9
	;; [unrolled: 1-line block ×3, first 2 shown]
	v_add_f32_e32 v89, v12, v7
	v_sub_f32_e32 v39, v7, v12
	v_add_f32_e32 v8, v14, v94
	v_add_f32_e32 v12, v15, v92
	;; [unrolled: 1-line block ×4, first 2 shown]
	v_fmac_f32_e32 v110, 0xbee1c552, v9
	v_fmac_f32_e32 v97, 0xbee1c552, v9
	v_sub_f32_e32 v85, v11, v109
	v_sub_f32_e32 v87, v5, v96
	;; [unrolled: 1-line block ×3, first 2 shown]
	v_add_f32_e32 v38, v13, v6
	v_add_f32_e32 v7, v96, v5
	;; [unrolled: 1-line block ×4, first 2 shown]
	v_sub_f32_e32 v11, v21, v95
	v_add_f32_e32 v13, v22, v93
	v_add_f32_e32 v21, v20, v66
	v_sub_f32_e32 v20, v66, v20
	v_add_f32_e32 v66, v12, v8
	v_add_f32_e32 v84, v110, v10
	;; [unrolled: 1-line block ×3, first 2 shown]
	v_sub_f32_e32 v6, v4, v97
	v_sub_f32_e32 v4, v10, v110
	;; [unrolled: 1-line block ×5, first 2 shown]
	v_add_f32_e32 v22, v23, v67
	v_sub_f32_e32 v23, v67, v23
	v_add_f32_e32 v67, v13, v9
	v_sub_f32_e32 v92, v12, v8
	v_sub_f32_e32 v8, v8, v21
	v_sub_f32_e32 v12, v21, v12
	v_add_f32_e32 v21, v21, v66
	v_sub_f32_e32 v93, v13, v9
	v_sub_f32_e32 v9, v9, v22
	;; [unrolled: 4-line block ×3, first 2 shown]
	v_add_f32_e32 v22, v22, v67
	v_add_f32_e32 v14, v21, v48
	;; [unrolled: 1-line block ×3, first 2 shown]
	v_sub_f32_e32 v97, v23, v15
	v_sub_f32_e32 v20, v10, v20
	;; [unrolled: 1-line block ×3, first 2 shown]
	v_add_f32_e32 v10, v94, v10
	v_add_f32_e32 v15, v22, v49
	v_mov_b32_e32 v94, v14
	v_sub_f32_e32 v23, v11, v23
	v_mul_f32_e32 v8, 0x3f4a47b2, v8
	v_mul_f32_e32 v48, 0x3d64c772, v12
	;; [unrolled: 1-line block ×5, first 2 shown]
	v_fmac_f32_e32 v94, 0xbf955555, v21
	v_mov_b32_e32 v21, v15
	v_add_f32_e32 v11, v95, v11
	v_mul_f32_e32 v9, 0x3f4a47b2, v9
	v_mul_f32_e32 v67, 0x3f08b237, v97
	;; [unrolled: 1-line block ×3, first 2 shown]
	v_fmac_f32_e32 v21, 0xbf955555, v22
	v_fmamk_f32 v12, v12, 0x3d64c772, v8
	v_fma_f32 v22, 0x3f3bfb3b, v92, -v48
	v_fma_f32 v48, 0x3f3bfb3b, v93, -v49
	;; [unrolled: 1-line block ×4, first 2 shown]
	v_fmac_f32_e32 v110, 0x3eae86e6, v23
	v_fmamk_f32 v13, v13, 0x3d64c772, v9
	v_fma_f32 v9, 0xbf3bfb3b, v93, -v9
	v_fmamk_f32 v49, v20, 0xbeae86e6, v66
	v_fmamk_f32 v111, v23, 0xbeae86e6, v67
	v_fma_f32 v66, 0xbf5ff5aa, v108, -v67
	v_fmac_f32_e32 v109, 0x3eae86e6, v20
	v_add_f32_e32 v20, v22, v94
	v_add_f32_e32 v22, v48, v21
	;; [unrolled: 1-line block ×3, first 2 shown]
	v_fmac_f32_e32 v107, 0xbee1c552, v10
	v_fmac_f32_e32 v110, 0xbee1c552, v11
	v_add_f32_e32 v12, v12, v94
	v_add_f32_e32 v9, v9, v21
	v_fmac_f32_e32 v111, 0xbee1c552, v11
	v_fmac_f32_e32 v66, 0xbee1c552, v11
	;; [unrolled: 1-line block ×3, first 2 shown]
	v_add_f32_e32 v94, v110, v8
	v_add_f32_e32 v97, v107, v22
	v_sub_f32_e32 v67, v22, v107
	v_sub_f32_e32 v22, v8, v110
	v_add_f32_e32 v8, v2, v103
	v_add_f32_e32 v11, v3, v101
	;; [unrolled: 1-line block ×3, first 2 shown]
	v_fmac_f32_e32 v49, 0xbee1c552, v10
	v_add_f32_e32 v92, v111, v12
	v_sub_f32_e32 v95, v9, v109
	v_sub_f32_e32 v96, v20, v66
	v_add_f32_e32 v66, v66, v20
	v_add_f32_e32 v23, v109, v9
	v_sub_f32_e32 v20, v12, v111
	v_add_f32_e32 v9, v17, v104
	v_sub_f32_e32 v10, v17, v104
	v_add_f32_e32 v12, v18, v102
	v_add_f32_e32 v17, v16, v30
	v_sub_f32_e32 v16, v30, v16
	v_add_f32_e32 v30, v11, v8
	v_sub_f32_e32 v93, v13, v49
	;; [unrolled: 2-line block ×5, first 2 shown]
	v_sub_f32_e32 v8, v8, v17
	v_sub_f32_e32 v11, v17, v11
	v_add_f32_e32 v17, v17, v30
	v_sub_f32_e32 v3, v3, v101
	v_sub_f32_e32 v49, v12, v9
	v_sub_f32_e32 v9, v9, v18
	v_sub_f32_e32 v12, v18, v12
	v_add_f32_e32 v18, v18, v31
	v_add_f32_e32 v30, v17, v50
	v_sub_f32_e32 v2, v2, v103
	v_add_f32_e32 v101, v16, v3
	v_add_f32_e32 v102, v19, v13
	v_sub_f32_e32 v103, v16, v3
	v_sub_f32_e32 v104, v19, v13
	v_add_f32_e32 v31, v18, v51
	v_mov_b32_e32 v107, v30
	v_sub_f32_e32 v16, v2, v16
	v_sub_f32_e32 v19, v10, v19
	;; [unrolled: 1-line block ×4, first 2 shown]
	v_add_f32_e32 v2, v101, v2
	v_add_f32_e32 v10, v102, v10
	v_mul_f32_e32 v8, 0x3f4a47b2, v8
	v_mul_f32_e32 v9, 0x3f4a47b2, v9
	;; [unrolled: 1-line block ×6, first 2 shown]
	v_fmac_f32_e32 v107, 0xbf955555, v17
	v_mov_b32_e32 v17, v31
	v_mul_f32_e32 v103, 0x3f5ff5aa, v3
	v_mul_f32_e32 v104, 0x3f5ff5aa, v13
	v_fmamk_f32 v11, v11, 0x3d64c772, v8
	v_fmamk_f32 v12, v12, 0x3d64c772, v9
	v_fmac_f32_e32 v17, 0xbf955555, v18
	v_fma_f32 v18, 0x3f3bfb3b, v48, -v50
	v_fma_f32 v50, 0x3f3bfb3b, v49, -v51
	;; [unrolled: 1-line block ×3, first 2 shown]
	v_fmamk_f32 v48, v16, 0xbeae86e6, v101
	v_fma_f32 v3, 0xbf5ff5aa, v3, -v101
	v_fma_f32 v51, 0xbf5ff5aa, v13, -v102
	;; [unrolled: 1-line block ×3, first 2 shown]
	v_fmamk_f32 v49, v19, 0xbeae86e6, v102
	v_fmac_f32_e32 v104, 0x3eae86e6, v19
	v_add_f32_e32 v101, v11, v107
	v_add_f32_e32 v102, v12, v17
	;; [unrolled: 1-line block ×4, first 2 shown]
	v_fmac_f32_e32 v48, 0xbee1c552, v2
	v_fmac_f32_e32 v3, 0xbee1c552, v2
	v_fmac_f32_e32 v51, 0xbee1c552, v10
	v_fmac_f32_e32 v103, 0x3eae86e6, v16
	v_fmac_f32_e32 v49, 0xbee1c552, v10
	v_fmac_f32_e32 v104, 0xbee1c552, v10
	v_sub_f32_e32 v19, v102, v48
	v_sub_f32_e32 v12, v11, v51
	v_add_f32_e32 v13, v3, v50
	v_add_f32_e32 v10, v51, v11
	v_sub_f32_e32 v11, v50, v3
	v_add_f32_e32 v3, v48, v102
	v_add_f32_e32 v48, v24, v105
	;; [unrolled: 1-line block ×4, first 2 shown]
	v_fmac_f32_e32 v103, 0xbee1c552, v2
	v_add_f32_e32 v18, v49, v101
	v_sub_f32_e32 v2, v101, v49
	v_add_f32_e32 v49, v27, v106
	v_add_f32_e32 v51, v28, v37
	v_sub_f32_e32 v25, v25, v36
	v_add_f32_e32 v36, v26, v34
	v_sub_f32_e32 v26, v34, v26
	v_add_f32_e32 v34, v50, v48
	v_add_f32_e32 v8, v8, v107
	v_sub_f32_e32 v17, v9, v103
	v_add_f32_e32 v9, v103, v9
	v_sub_f32_e32 v24, v24, v105
	v_sub_f32_e32 v28, v28, v37
	v_add_f32_e32 v37, v29, v35
	v_sub_f32_e32 v29, v35, v29
	v_add_f32_e32 v35, v51, v49
	v_sub_f32_e32 v101, v50, v48
	v_sub_f32_e32 v103, v48, v36
	v_add_f32_e32 v48, v26, v25
	v_add_f32_e32 v34, v36, v34
	;; [unrolled: 1-line block ×3, first 2 shown]
	v_sub_f32_e32 v8, v8, v104
	v_sub_f32_e32 v27, v27, v106
	;; [unrolled: 1-line block ×4, first 2 shown]
	v_add_f32_e32 v49, v29, v28
	v_sub_f32_e32 v105, v26, v25
	v_sub_f32_e32 v26, v24, v26
	;; [unrolled: 1-line block ×3, first 2 shown]
	v_add_f32_e32 v35, v37, v35
	v_add_f32_e32 v24, v48, v24
	;; [unrolled: 1-line block ×3, first 2 shown]
	v_sub_f32_e32 v50, v36, v50
	v_sub_f32_e32 v51, v37, v51
	;; [unrolled: 1-line block ×5, first 2 shown]
	v_add_f32_e32 v27, v49, v27
	v_add_f32_e32 v49, v35, v1
	v_mov_b32_e32 v107, v48
	v_mul_f32_e32 v0, 0x3f4a47b2, v103
	v_mul_f32_e32 v1, 0x3f4a47b2, v104
	;; [unrolled: 1-line block ×8, first 2 shown]
	v_fmac_f32_e32 v107, 0xbf955555, v34
	v_mov_b32_e32 v34, v49
	v_fma_f32 v36, 0x3f3bfb3b, v101, -v36
	v_fma_f32 v37, 0x3f3bfb3b, v102, -v37
	v_fma_f32 v25, 0xbf5ff5aa, v25, -v103
	v_fmac_f32_e32 v105, 0x3eae86e6, v26
	v_fmac_f32_e32 v34, 0xbf955555, v35
	v_fmamk_f32 v35, v50, 0x3d64c772, v0
	v_fmamk_f32 v50, v51, 0x3d64c772, v1
	v_fma_f32 v0, 0xbf3bfb3b, v101, -v0
	v_fma_f32 v1, 0xbf3bfb3b, v102, -v1
	v_fmamk_f32 v51, v26, 0xbeae86e6, v103
	v_fmamk_f32 v101, v29, 0xbeae86e6, v104
	v_fma_f32 v102, 0xbf5ff5aa, v28, -v104
	v_fmac_f32_e32 v106, 0x3eae86e6, v29
	v_add_f32_e32 v103, v35, v107
	v_add_f32_e32 v50, v50, v34
	;; [unrolled: 1-line block ×6, first 2 shown]
	v_fmac_f32_e32 v51, 0xbee1c552, v24
	v_fmac_f32_e32 v101, 0xbee1c552, v27
	v_fmac_f32_e32 v25, 0xbee1c552, v24
	v_fmac_f32_e32 v102, 0xbee1c552, v27
	v_fmac_f32_e32 v105, 0xbee1c552, v24
	v_fmac_f32_e32 v106, 0xbee1c552, v27
	ds_write_b64 v100, v[54:55] offset:2744
	ds_write_b64 v100, v[52:53] offset:5488
	;; [unrolled: 1-line block ×6, first 2 shown]
	ds_write2_b64 v100, v[32:33], v[82:83] offset1:49
	ds_write2_b64 v221, v[90:91], v[98:99] offset0:136 offset1:185
	v_add_nc_u32_e32 v32, 0x1400, v100
	v_add_nc_u32_e32 v33, 0x2c00, v100
	v_add_f32_e32 v36, v101, v103
	v_sub_f32_e32 v37, v50, v51
	v_add_f32_e32 v34, v106, v0
	v_sub_f32_e32 v35, v1, v105
	v_sub_f32_e32 v28, v26, v102
	v_add_f32_e32 v29, v25, v104
	v_add_f32_e32 v26, v102, v26
	v_sub_f32_e32 v27, v104, v25
	v_sub_f32_e32 v24, v0, v106
	v_add_f32_e32 v25, v105, v1
	v_sub_f32_e32 v0, v103, v101
	v_add_f32_e32 v1, v51, v50
	ds_write2_b64 v32, v[56:57], v[70:71] offset0:95 offset1:144
	ds_write2_b64 v225, v[58:59], v[72:73] offset0:54 offset1:103
	;; [unrolled: 1-line block ×13, first 2 shown]
	ds_write_b64 v100, v[48:49] offset:2352
	ds_write2_b64 v223, v[18:19], v[36:37] offset0:76 offset1:125
	ds_write2_b64 v224, v[16:17], v[34:35] offset0:163 offset1:212
	;; [unrolled: 1-line block ×5, first 2 shown]
	v_add_nc_u32_e32 v4, 0x4400, v100
	ds_write2_b64 v4, v[2:3], v[0:1] offset0:127 offset1:176
	s_waitcnt lgkmcnt(0)
	s_barrier
	buffer_gl0_inv
	ds_read2_b64 v[12:15], v100 offset1:49
	s_clause 0x2
	buffer_load_dword v2, off, s[16:19], 0 offset:392
	buffer_load_dword v3, off, s[16:19], 0 offset:396
	;; [unrolled: 1-line block ×3, first 2 shown]
	s_waitcnt vmcnt(1) lgkmcnt(0)
	v_mul_f32_e32 v0, v3, v13
	v_fmac_f32_e32 v0, v2, v12
	v_cvt_f64_f32_e32 v[0:1], v0
	v_mul_f64 v[0:1], v[0:1], s[2:3]
	v_cvt_f32_f64_e32 v0, v[0:1]
	v_mul_f32_e32 v1, v3, v12
	v_fma_f32 v1, v2, v13, -v1
	v_cvt_f64_f32_e32 v[1:2], v1
	v_mul_f64 v[1:2], v[1:2], s[2:3]
	v_cvt_f32_f64_e32 v1, v[1:2]
	s_waitcnt vmcnt(0)
	v_mad_u64_u32 v[2:3], null, s0, v4, 0
	s_mulk_i32 s0, 0xc138
	v_mad_u64_u32 v[3:4], null, s1, v4, v[3:4]
	s_clause 0x1
	buffer_load_dword v4, off, s[16:19], 0 offset:336
	buffer_load_dword v5, off, s[16:19], 0 offset:340
	ds_read2_b64 v[6:9], v221 offset0:38 offset1:87
	s_mulk_i32 s1, 0xc138
	s_add_i32 s1, s6, s1
	v_lshlrev_b64 v[2:3], 3, v[2:3]
	s_waitcnt vmcnt(0)
	v_lshlrev_b64 v[4:5], 3, v[4:5]
	v_add_co_u32 v4, vcc_lo, s12, v4
	v_add_co_ci_u32_e32 v5, vcc_lo, s13, v5, vcc_lo
	v_add_co_u32 v2, vcc_lo, v4, v2
	v_add_co_ci_u32_e32 v3, vcc_lo, v5, v3, vcc_lo
	global_store_dwordx2 v[2:3], v[0:1], off
	s_clause 0x1
	buffer_load_dword v4, off, s[16:19], 0 offset:384
	buffer_load_dword v5, off, s[16:19], 0 offset:388
	v_add_co_u32 v2, vcc_lo, v2, s5
	v_add_co_ci_u32_e32 v3, vcc_lo, s4, v3, vcc_lo
	ds_read2_b64 v[16:19], v223 offset0:174 offset1:223
	s_waitcnt vmcnt(0) lgkmcnt(1)
	v_mul_f32_e32 v0, v5, v9
	v_fmac_f32_e32 v0, v4, v8
	v_cvt_f64_f32_e32 v[0:1], v0
	v_mul_f64 v[0:1], v[0:1], s[2:3]
	v_cvt_f32_f64_e32 v0, v[0:1]
	v_mul_f32_e32 v1, v5, v8
	v_fma_f32 v1, v4, v9, -v1
	v_cvt_f64_f32_e32 v[4:5], v1
	v_mul_f64 v[4:5], v[4:5], s[2:3]
	v_cvt_f32_f64_e32 v1, v[4:5]
	global_store_dwordx2 v[2:3], v[0:1], off
	s_clause 0x1
	buffer_load_dword v4, off, s[16:19], 0 offset:376
	buffer_load_dword v5, off, s[16:19], 0 offset:380
	s_waitcnt vmcnt(0) lgkmcnt(0)
	v_mul_f32_e32 v0, v5, v17
	v_fmac_f32_e32 v0, v4, v16
	v_cvt_f64_f32_e32 v[0:1], v0
	v_mul_f64 v[0:1], v[0:1], s[2:3]
	v_cvt_f32_f64_e32 v0, v[0:1]
	v_mul_f32_e32 v1, v5, v16
	v_fma_f32 v1, v4, v17, -v1
	v_cvt_f64_f32_e32 v[4:5], v1
	v_mul_f64 v[4:5], v[4:5], s[2:3]
	v_cvt_f32_f64_e32 v1, v[4:5]
	v_add_co_u32 v4, vcc_lo, v2, s5
	v_add_co_ci_u32_e32 v5, vcc_lo, s4, v3, vcc_lo
	global_store_dwordx2 v[4:5], v[0:1], off
	ds_read2_b64 v[0:3], v145 offset0:84 offset1:133
	s_clause 0x1
	buffer_load_dword v10, off, s[16:19], 0 offset:368
	buffer_load_dword v11, off, s[16:19], 0 offset:372
	s_waitcnt vmcnt(0) lgkmcnt(0)
	v_mul_f32_e32 v8, v11, v3
	v_fmac_f32_e32 v8, v10, v2
	v_mul_f32_e32 v2, v11, v2
	v_cvt_f64_f32_e32 v[8:9], v8
	v_fma_f32 v2, v10, v3, -v2
	ds_read2_b64 v[10:13], v220 offset0:92 offset1:141
	v_cvt_f64_f32_e32 v[2:3], v2
	v_mul_f64 v[8:9], v[8:9], s[2:3]
	v_mul_f64 v[2:3], v[2:3], s[2:3]
	v_cvt_f32_f64_e32 v8, v[8:9]
	v_cvt_f32_f64_e32 v9, v[2:3]
	v_add_co_u32 v2, vcc_lo, v4, s5
	v_add_co_ci_u32_e32 v3, vcc_lo, s4, v5, vcc_lo
	global_store_dwordx2 v[2:3], v[8:9], off
	s_clause 0x1
	buffer_load_dword v8, off, s[16:19], 0 offset:360
	buffer_load_dword v9, off, s[16:19], 0 offset:364
	s_waitcnt vmcnt(0) lgkmcnt(0)
	v_mul_f32_e32 v4, v9, v11
	v_fmac_f32_e32 v4, v8, v10
	v_cvt_f64_f32_e32 v[4:5], v4
	v_mul_f64 v[4:5], v[4:5], s[2:3]
	v_cvt_f32_f64_e32 v4, v[4:5]
	v_mul_f32_e32 v5, v9, v10
	v_fma_f32 v5, v8, v11, -v5
	v_cvt_f64_f32_e32 v[8:9], v5
	v_mul_f64 v[8:9], v[8:9], s[2:3]
	v_cvt_f32_f64_e32 v5, v[8:9]
	v_add_co_u32 v8, vcc_lo, v2, s5
	v_add_co_ci_u32_e32 v9, vcc_lo, s4, v3, vcc_lo
	global_store_dwordx2 v[8:9], v[4:5], off
	ds_read2_b64 v[2:5], v222 offset0:130 offset1:179
	s_clause 0x1
	buffer_load_dword v16, off, s[16:19], 0 offset:352
	buffer_load_dword v17, off, s[16:19], 0 offset:356
	s_waitcnt vmcnt(0) lgkmcnt(0)
	v_mul_f32_e32 v10, v17, v5
	v_fmac_f32_e32 v10, v16, v4
	v_mul_f32_e32 v4, v17, v4
	v_cvt_f64_f32_e32 v[10:11], v10
	v_fma_f32 v4, v16, v5, -v4
	v_cvt_f64_f32_e32 v[4:5], v4
	v_mul_f64 v[10:11], v[10:11], s[2:3]
	v_mul_f64 v[4:5], v[4:5], s[2:3]
	v_cvt_f32_f64_e32 v10, v[10:11]
	v_cvt_f32_f64_e32 v11, v[4:5]
	v_add_co_u32 v4, vcc_lo, v8, s5
	v_add_co_ci_u32_e32 v5, vcc_lo, s4, v9, vcc_lo
	global_store_dwordx2 v[4:5], v[10:11], off
	ds_read2_b64 v[8:11], v119 offset0:10 offset1:59
	s_clause 0x1
	buffer_load_dword v20, off, s[16:19], 0 offset:344
	buffer_load_dword v21, off, s[16:19], 0 offset:348
	v_add_co_u32 v4, vcc_lo, v4, s5
	v_add_co_ci_u32_e32 v5, vcc_lo, s4, v5, vcc_lo
	s_waitcnt vmcnt(0) lgkmcnt(0)
	v_mul_f32_e32 v16, v21, v9
	v_fmac_f32_e32 v16, v20, v8
	v_mul_f32_e32 v8, v21, v8
	v_cvt_f64_f32_e32 v[16:17], v16
	v_fma_f32 v8, v20, v9, -v8
	v_cvt_f64_f32_e32 v[8:9], v8
	v_mul_f64 v[16:17], v[16:17], s[2:3]
	v_mul_f64 v[8:9], v[8:9], s[2:3]
	v_cvt_f32_f64_e32 v16, v[16:17]
	v_cvt_f32_f64_e32 v17, v[8:9]
	global_store_dwordx2 v[4:5], v[16:17], off
	s_clause 0x1
	buffer_load_dword v16, off, s[16:19], 0 offset:328
	buffer_load_dword v17, off, s[16:19], 0 offset:332
	v_add_co_u32 v4, vcc_lo, v4, s0
	v_add_co_ci_u32_e32 v5, vcc_lo, s1, v5, vcc_lo
	s_waitcnt vmcnt(0)
	v_mul_f32_e32 v8, v17, v15
	v_fmac_f32_e32 v8, v16, v14
	v_cvt_f64_f32_e32 v[8:9], v8
	v_mul_f64 v[8:9], v[8:9], s[2:3]
	v_cvt_f32_f64_e32 v8, v[8:9]
	v_mul_f32_e32 v9, v17, v14
	v_fma_f32 v9, v16, v15, -v9
	v_cvt_f64_f32_e32 v[14:15], v9
	v_mul_f64 v[14:15], v[14:15], s[2:3]
	v_cvt_f32_f64_e32 v9, v[14:15]
	ds_read2_b64 v[14:17], v221 offset0:136 offset1:185
	global_store_dwordx2 v[4:5], v[8:9], off
	s_clause 0x1
	buffer_load_dword v20, off, s[16:19], 0 offset:320
	buffer_load_dword v21, off, s[16:19], 0 offset:324
	v_add_co_u32 v4, vcc_lo, v4, s5
	v_add_co_ci_u32_e32 v5, vcc_lo, s4, v5, vcc_lo
	s_waitcnt vmcnt(0) lgkmcnt(0)
	v_mul_f32_e32 v8, v21, v15
	v_fmac_f32_e32 v8, v20, v14
	v_cvt_f64_f32_e32 v[8:9], v8
	v_mul_f64 v[8:9], v[8:9], s[2:3]
	v_cvt_f32_f64_e32 v8, v[8:9]
	v_mul_f32_e32 v9, v21, v14
	v_fma_f32 v9, v20, v15, -v9
	v_cvt_f64_f32_e32 v[14:15], v9
	v_mul_f64 v[14:15], v[14:15], s[2:3]
	v_cvt_f32_f64_e32 v9, v[14:15]
	global_store_dwordx2 v[4:5], v[8:9], off
	s_clause 0x1
	buffer_load_dword v14, off, s[16:19], 0 offset:312
	buffer_load_dword v15, off, s[16:19], 0 offset:316
	v_add_co_u32 v4, vcc_lo, v4, s5
	v_add_co_ci_u32_e32 v5, vcc_lo, s4, v5, vcc_lo
	s_waitcnt vmcnt(0)
	v_mul_f32_e32 v8, v15, v19
	v_fmac_f32_e32 v8, v14, v18
	v_cvt_f64_f32_e32 v[8:9], v8
	v_mul_f64 v[8:9], v[8:9], s[2:3]
	v_cvt_f32_f64_e32 v8, v[8:9]
	v_mul_f32_e32 v9, v15, v18
	v_fma_f32 v9, v14, v19, -v9
	ds_read2_b64 v[18:21], v225 offset0:54 offset1:103
	v_cvt_f64_f32_e32 v[14:15], v9
	v_mul_f64 v[14:15], v[14:15], s[2:3]
	v_cvt_f32_f64_e32 v9, v[14:15]
	global_store_dwordx2 v[4:5], v[8:9], off
	s_clause 0x1
	buffer_load_dword v14, off, s[16:19], 0 offset:304
	buffer_load_dword v15, off, s[16:19], 0 offset:308
	v_add_co_u32 v4, vcc_lo, v4, s5
	v_add_co_ci_u32_e32 v5, vcc_lo, s4, v5, vcc_lo
	s_waitcnt vmcnt(0) lgkmcnt(0)
	v_mul_f32_e32 v8, v15, v19
	v_fmac_f32_e32 v8, v14, v18
	v_cvt_f64_f32_e32 v[8:9], v8
	v_mul_f64 v[8:9], v[8:9], s[2:3]
	v_cvt_f32_f64_e32 v8, v[8:9]
	v_mul_f32_e32 v9, v15, v18
	v_fma_f32 v9, v14, v19, -v9
	v_cvt_f64_f32_e32 v[14:15], v9
	v_mul_f64 v[14:15], v[14:15], s[2:3]
	v_cvt_f32_f64_e32 v9, v[14:15]
	global_store_dwordx2 v[4:5], v[8:9], off
	s_clause 0x1
	buffer_load_dword v14, off, s[16:19], 0 offset:264
	buffer_load_dword v15, off, s[16:19], 0 offset:268
	v_add_co_u32 v4, vcc_lo, v4, s5
	v_add_co_ci_u32_e32 v5, vcc_lo, s4, v5, vcc_lo
	ds_read2_b64 v[22:25], v146 offset0:100 offset1:149
	s_waitcnt vmcnt(0)
	v_mul_f32_e32 v8, v15, v13
	v_fmac_f32_e32 v8, v14, v12
	v_cvt_f64_f32_e32 v[8:9], v8
	v_mul_f64 v[8:9], v[8:9], s[2:3]
	v_cvt_f32_f64_e32 v8, v[8:9]
	v_mul_f32_e32 v9, v15, v12
	v_fma_f32 v9, v14, v13, -v9
	v_cvt_f64_f32_e32 v[12:13], v9
	v_mul_f64 v[12:13], v[12:13], s[2:3]
	v_cvt_f32_f64_e32 v9, v[12:13]
	global_store_dwordx2 v[4:5], v[8:9], off
	s_clause 0x1
	buffer_load_dword v12, off, s[16:19], 0 offset:240
	buffer_load_dword v13, off, s[16:19], 0 offset:244
	v_add_co_u32 v4, vcc_lo, v4, s5
	v_add_co_ci_u32_e32 v5, vcc_lo, s4, v5, vcc_lo
	s_waitcnt vmcnt(0) lgkmcnt(0)
	v_mul_f32_e32 v8, v13, v23
	v_fmac_f32_e32 v8, v12, v22
	v_cvt_f64_f32_e32 v[8:9], v8
	v_mul_f64 v[8:9], v[8:9], s[2:3]
	v_cvt_f32_f64_e32 v8, v[8:9]
	v_mul_f32_e32 v9, v13, v22
	v_fma_f32 v9, v12, v23, -v9
	v_cvt_f64_f32_e32 v[12:13], v9
	v_mul_f64 v[12:13], v[12:13], s[2:3]
	v_cvt_f32_f64_e32 v9, v[12:13]
	global_store_dwordx2 v[4:5], v[8:9], off
	s_clause 0x1
	buffer_load_dword v12, off, s[16:19], 0 offset:200
	buffer_load_dword v13, off, s[16:19], 0 offset:204
	v_add_co_u32 v4, vcc_lo, v4, s5
	v_add_co_ci_u32_e32 v5, vcc_lo, s4, v5, vcc_lo
	ds_read2_b64 v[26:29], v100 offset0:98 offset1:147
	s_waitcnt vmcnt(0)
	v_mul_f32_e32 v8, v13, v11
	v_fmac_f32_e32 v8, v12, v10
	v_cvt_f64_f32_e32 v[8:9], v8
	v_mul_f64 v[8:9], v[8:9], s[2:3]
	v_cvt_f32_f64_e32 v8, v[8:9]
	v_mul_f32_e32 v9, v13, v10
	v_fma_f32 v9, v12, v11, -v9
	v_cvt_f64_f32_e32 v[9:10], v9
	v_mul_f64 v[9:10], v[9:10], s[2:3]
	v_cvt_f32_f64_e32 v9, v[9:10]
	global_store_dwordx2 v[4:5], v[8:9], off
	s_clause 0x1
	buffer_load_dword v9, off, s[16:19], 0 offset:208
	buffer_load_dword v10, off, s[16:19], 0 offset:212
	v_add_co_u32 v4, vcc_lo, v4, s0
	v_add_co_ci_u32_e32 v5, vcc_lo, s1, v5, vcc_lo
	s_waitcnt vmcnt(0) lgkmcnt(0)
	v_mul_f32_e32 v8, v10, v27
	v_mov_b32_e32 v11, v10
	v_mov_b32_e32 v10, v9
	v_fmac_f32_e32 v8, v9, v26
	v_cvt_f64_f32_e32 v[8:9], v8
	v_mul_f64 v[8:9], v[8:9], s[2:3]
	v_cvt_f32_f64_e32 v8, v[8:9]
	v_mul_f32_e32 v9, v11, v26
	v_fma_f32 v9, v10, v27, -v9
	v_cvt_f64_f32_e32 v[9:10], v9
	v_mul_f64 v[9:10], v[9:10], s[2:3]
	v_cvt_f32_f64_e32 v9, v[9:10]
	global_store_dwordx2 v[4:5], v[8:9], off
	s_clause 0x1
	buffer_load_dword v9, off, s[16:19], 0 offset:184
	buffer_load_dword v10, off, s[16:19], 0 offset:188
	v_add_co_u32 v4, vcc_lo, v4, s5
	v_add_co_ci_u32_e32 v5, vcc_lo, s4, v5, vcc_lo
	s_waitcnt vmcnt(0)
	v_mul_f32_e32 v8, v10, v17
	v_mov_b32_e32 v11, v10
	v_mov_b32_e32 v10, v9
	v_fmac_f32_e32 v8, v9, v16
	v_cvt_f64_f32_e32 v[8:9], v8
	v_mul_f64 v[8:9], v[8:9], s[2:3]
	v_cvt_f32_f64_e32 v8, v[8:9]
	v_mul_f32_e32 v9, v11, v16
	v_fma_f32 v9, v10, v17, -v9
	v_cvt_f64_f32_e32 v[9:10], v9
	v_mul_f64 v[9:10], v[9:10], s[2:3]
	v_cvt_f32_f64_e32 v9, v[9:10]
	ds_read2_b64 v[10:13], v224 offset0:16 offset1:65
	global_store_dwordx2 v[4:5], v[8:9], off
	s_clause 0x1
	buffer_load_dword v14, off, s[16:19], 0 offset:256
	buffer_load_dword v15, off, s[16:19], 0 offset:260
	v_add_co_u32 v4, vcc_lo, v4, s5
	v_add_co_ci_u32_e32 v5, vcc_lo, s4, v5, vcc_lo
	s_waitcnt vmcnt(0) lgkmcnt(0)
	v_mul_f32_e32 v8, v15, v11
	v_fmac_f32_e32 v8, v14, v10
	v_cvt_f64_f32_e32 v[8:9], v8
	v_mul_f64 v[8:9], v[8:9], s[2:3]
	v_cvt_f32_f64_e32 v8, v[8:9]
	v_mul_f32_e32 v9, v15, v10
	v_fma_f32 v9, v14, v11, -v9
	v_cvt_f64_f32_e32 v[9:10], v9
	v_mul_f64 v[9:10], v[9:10], s[2:3]
	v_cvt_f32_f64_e32 v9, v[9:10]
	global_store_dwordx2 v[4:5], v[8:9], off
	s_clause 0x1
	buffer_load_dword v10, off, s[16:19], 0 offset:296
	buffer_load_dword v11, off, s[16:19], 0 offset:300
	v_add_co_u32 v4, vcc_lo, v4, s5
	v_add_co_ci_u32_e32 v5, vcc_lo, s4, v5, vcc_lo
	ds_read2_b64 v[14:17], v220 offset0:190 offset1:239
	s_waitcnt vmcnt(0)
	v_mul_f32_e32 v8, v11, v21
	v_fmac_f32_e32 v8, v10, v20
	v_cvt_f64_f32_e32 v[8:9], v8
	v_mul_f64 v[8:9], v[8:9], s[2:3]
	v_cvt_f32_f64_e32 v8, v[8:9]
	v_mul_f32_e32 v9, v11, v20
	v_fma_f32 v9, v10, v21, -v9
	v_cvt_f64_f32_e32 v[9:10], v9
	v_mul_f64 v[9:10], v[9:10], s[2:3]
	v_cvt_f32_f64_e32 v9, v[9:10]
	global_store_dwordx2 v[4:5], v[8:9], off
	s_clause 0x1
	buffer_load_dword v9, off, s[16:19], 0 offset:280
	buffer_load_dword v10, off, s[16:19], 0 offset:284
	v_add_co_u32 v4, vcc_lo, v4, s5
	v_add_co_ci_u32_e32 v5, vcc_lo, s4, v5, vcc_lo
	s_waitcnt vmcnt(0) lgkmcnt(0)
	v_mul_f32_e32 v8, v10, v15
	v_mov_b32_e32 v11, v10
	v_mov_b32_e32 v10, v9
	v_fmac_f32_e32 v8, v9, v14
	v_cvt_f64_f32_e32 v[8:9], v8
	v_mul_f64 v[8:9], v[8:9], s[2:3]
	v_cvt_f32_f64_e32 v8, v[8:9]
	v_mul_f32_e32 v9, v11, v14
	v_fma_f32 v9, v10, v15, -v9
	v_cvt_f64_f32_e32 v[9:10], v9
	v_mul_f64 v[9:10], v[9:10], s[2:3]
	v_cvt_f32_f64_e32 v9, v[9:10]
	global_store_dwordx2 v[4:5], v[8:9], off
	s_clause 0x1
	buffer_load_dword v10, off, s[16:19], 0 offset:288
	buffer_load_dword v11, off, s[16:19], 0 offset:292
	v_add_co_u32 v4, vcc_lo, v4, s5
	v_add_co_ci_u32_e32 v5, vcc_lo, s4, v5, vcc_lo
	s_waitcnt vmcnt(0)
	v_mul_f32_e32 v8, v11, v25
	v_fmac_f32_e32 v8, v10, v24
	v_cvt_f64_f32_e32 v[8:9], v8
	v_mul_f64 v[8:9], v[8:9], s[2:3]
	v_cvt_f32_f64_e32 v8, v[8:9]
	v_mul_f32_e32 v9, v11, v24
	v_fma_f32 v9, v10, v25, -v9
	v_cvt_f64_f32_e32 v[9:10], v9
	v_mul_f64 v[9:10], v[9:10], s[2:3]
	v_cvt_f32_f64_e32 v9, v[9:10]
	global_store_dwordx2 v[4:5], v[8:9], off
	ds_read2_b64 v[8:11], v119 offset0:108 offset1:157
	s_clause 0x1
	buffer_load_dword v18, off, s[16:19], 0 offset:248
	buffer_load_dword v19, off, s[16:19], 0 offset:252
	v_add_co_u32 v4, vcc_lo, v4, s5
	v_add_co_ci_u32_e32 v5, vcc_lo, s4, v5, vcc_lo
	s_waitcnt vmcnt(0) lgkmcnt(0)
	v_mul_f32_e32 v14, v19, v9
	v_fmac_f32_e32 v14, v18, v8
	v_mul_f32_e32 v8, v19, v8
	v_cvt_f64_f32_e32 v[14:15], v14
	v_fma_f32 v8, v18, v9, -v8
	v_cvt_f64_f32_e32 v[8:9], v8
	v_mul_f64 v[14:15], v[14:15], s[2:3]
	v_mul_f64 v[8:9], v[8:9], s[2:3]
	v_cvt_f32_f64_e32 v14, v[14:15]
	v_cvt_f32_f64_e32 v15, v[8:9]
	global_store_dwordx2 v[4:5], v[14:15], off
	s_clause 0x1
	buffer_load_dword v14, off, s[16:19], 0 offset:272
	buffer_load_dword v15, off, s[16:19], 0 offset:276
	v_add_co_u32 v4, vcc_lo, v4, s0
	v_add_co_ci_u32_e32 v5, vcc_lo, s1, v5, vcc_lo
	ds_read2_b64 v[20:23], v144 offset0:106 offset1:155
	s_waitcnt vmcnt(0)
	v_mul_f32_e32 v8, v15, v29
	v_fmac_f32_e32 v8, v14, v28
	v_cvt_f64_f32_e32 v[8:9], v8
	v_mul_f64 v[8:9], v[8:9], s[2:3]
	v_cvt_f32_f64_e32 v8, v[8:9]
	v_mul_f32_e32 v9, v15, v28
	v_fma_f32 v9, v14, v29, -v9
	v_cvt_f64_f32_e32 v[14:15], v9
	v_mul_f64 v[14:15], v[14:15], s[2:3]
	v_cvt_f32_f64_e32 v9, v[14:15]
	global_store_dwordx2 v[4:5], v[8:9], off
	s_clause 0x1
	buffer_load_dword v14, off, s[16:19], 0 offset:232
	buffer_load_dword v15, off, s[16:19], 0 offset:236
	v_add_co_u32 v4, vcc_lo, v4, s5
	v_add_co_ci_u32_e32 v5, vcc_lo, s4, v5, vcc_lo
	s_waitcnt vmcnt(0) lgkmcnt(0)
	v_mul_f32_e32 v8, v15, v21
	v_fmac_f32_e32 v8, v14, v20
	v_cvt_f64_f32_e32 v[8:9], v8
	v_mul_f64 v[8:9], v[8:9], s[2:3]
	v_cvt_f32_f64_e32 v8, v[8:9]
	v_mul_f32_e32 v9, v15, v20
	v_fma_f32 v9, v14, v21, -v9
	v_cvt_f64_f32_e32 v[14:15], v9
	v_mul_f64 v[14:15], v[14:15], s[2:3]
	v_cvt_f32_f64_e32 v9, v[14:15]
	global_store_dwordx2 v[4:5], v[8:9], off
	s_clause 0x1
	buffer_load_dword v14, off, s[16:19], 0 offset:192
	buffer_load_dword v15, off, s[16:19], 0 offset:196
	v_add_co_u32 v4, vcc_lo, v4, s5
	v_add_co_ci_u32_e32 v5, vcc_lo, s4, v5, vcc_lo
	ds_read2_b64 v[24:27], v225 offset0:152 offset1:201
	s_waitcnt vmcnt(0)
	v_mul_f32_e32 v8, v15, v13
	v_fmac_f32_e32 v8, v14, v12
	v_cvt_f64_f32_e32 v[8:9], v8
	v_mul_f64 v[8:9], v[8:9], s[2:3]
	v_cvt_f32_f64_e32 v8, v[8:9]
	v_mul_f32_e32 v9, v15, v12
	v_fma_f32 v9, v14, v13, -v9
	v_cvt_f64_f32_e32 v[12:13], v9
	v_mul_f64 v[12:13], v[12:13], s[2:3]
	v_cvt_f32_f64_e32 v9, v[12:13]
	global_store_dwordx2 v[4:5], v[8:9], off
	s_clause 0x1
	buffer_load_dword v12, off, s[16:19], 0 offset:224
	buffer_load_dword v13, off, s[16:19], 0 offset:228
	v_add_co_u32 v4, vcc_lo, v4, s5
	v_add_co_ci_u32_e32 v5, vcc_lo, s4, v5, vcc_lo
	s_waitcnt vmcnt(0) lgkmcnt(0)
	v_mul_f32_e32 v8, v13, v25
	v_fmac_f32_e32 v8, v12, v24
	v_cvt_f64_f32_e32 v[8:9], v8
	v_mul_f64 v[8:9], v[8:9], s[2:3]
	v_cvt_f32_f64_e32 v8, v[8:9]
	v_mul_f32_e32 v9, v13, v24
	v_fma_f32 v9, v12, v25, -v9
	v_cvt_f64_f32_e32 v[12:13], v9
	v_mul_f64 v[12:13], v[12:13], s[2:3]
	v_cvt_f32_f64_e32 v9, v[12:13]
	global_store_dwordx2 v[4:5], v[8:9], off
	s_clause 0x1
	buffer_load_dword v12, off, s[16:19], 0 offset:216
	buffer_load_dword v13, off, s[16:19], 0 offset:220
	v_add_co_u32 v4, vcc_lo, v4, s5
	v_add_co_ci_u32_e32 v5, vcc_lo, s4, v5, vcc_lo
	s_waitcnt vmcnt(0)
	v_mul_f32_e32 v8, v13, v17
	v_fmac_f32_e32 v8, v12, v16
	v_cvt_f64_f32_e32 v[8:9], v8
	v_mul_f64 v[8:9], v[8:9], s[2:3]
	v_cvt_f32_f64_e32 v8, v[8:9]
	v_mul_f32_e32 v9, v13, v16
	v_fma_f32 v9, v12, v17, -v9
	ds_read2_b64 v[14:17], v118 offset0:70 offset1:119
	v_cvt_f64_f32_e32 v[12:13], v9
	v_mul_f64 v[12:13], v[12:13], s[2:3]
	v_cvt_f32_f64_e32 v9, v[12:13]
	global_store_dwordx2 v[4:5], v[8:9], off
	s_clause 0x1
	buffer_load_dword v12, off, s[16:19], 0 offset:176
	buffer_load_dword v13, off, s[16:19], 0 offset:180
	v_add_co_u32 v4, vcc_lo, v4, s5
	v_add_co_ci_u32_e32 v5, vcc_lo, s4, v5, vcc_lo
	s_waitcnt vmcnt(0) lgkmcnt(0)
	v_mul_f32_e32 v8, v13, v15
	v_fmac_f32_e32 v8, v12, v14
	v_cvt_f64_f32_e32 v[8:9], v8
	v_mul_f64 v[8:9], v[8:9], s[2:3]
	v_cvt_f32_f64_e32 v8, v[8:9]
	v_mul_f32_e32 v9, v13, v14
	v_fma_f32 v9, v12, v15, -v9
	v_cvt_f64_f32_e32 v[12:13], v9
	v_mul_f64 v[12:13], v[12:13], s[2:3]
	v_cvt_f32_f64_e32 v9, v[12:13]
	global_store_dwordx2 v[4:5], v[8:9], off
	s_clause 0x1
	buffer_load_dword v12, off, s[16:19], 0 offset:168
	buffer_load_dword v13, off, s[16:19], 0 offset:172
	v_add_co_u32 v4, vcc_lo, v4, s5
	v_add_co_ci_u32_e32 v5, vcc_lo, s4, v5, vcc_lo
	ds_read2_b64 v[18:21], v100 offset0:196 offset1:245
	s_waitcnt vmcnt(0)
	v_mul_f32_e32 v8, v13, v11
	v_fmac_f32_e32 v8, v12, v10
	v_cvt_f64_f32_e32 v[8:9], v8
	v_mul_f64 v[8:9], v[8:9], s[2:3]
	v_cvt_f32_f64_e32 v8, v[8:9]
	v_mul_f32_e32 v9, v13, v10
	v_fma_f32 v9, v12, v11, -v9
	v_cvt_f64_f32_e32 v[9:10], v9
	v_mul_f64 v[9:10], v[9:10], s[2:3]
	v_cvt_f32_f64_e32 v9, v[9:10]
	global_store_dwordx2 v[4:5], v[8:9], off
	s_clause 0x1
	buffer_load_dword v10, off, s[16:19], 0 offset:160
	buffer_load_dword v11, off, s[16:19], 0 offset:164
	v_add_co_u32 v4, vcc_lo, v4, s0
	v_add_co_ci_u32_e32 v5, vcc_lo, s1, v5, vcc_lo
	s_waitcnt vmcnt(0) lgkmcnt(0)
	v_mul_f32_e32 v8, v11, v19
	v_fmac_f32_e32 v8, v10, v18
	v_cvt_f64_f32_e32 v[8:9], v8
	v_mul_f64 v[8:9], v[8:9], s[2:3]
	v_cvt_f32_f64_e32 v8, v[8:9]
	v_mul_f32_e32 v9, v11, v18
	v_fma_f32 v9, v10, v19, -v9
	v_cvt_f64_f32_e32 v[9:10], v9
	v_mul_f64 v[9:10], v[9:10], s[2:3]
	v_cvt_f32_f64_e32 v9, v[9:10]
	global_store_dwordx2 v[4:5], v[8:9], off
	s_clause 0x1
	buffer_load_dword v10, off, s[16:19], 0 offset:152
	buffer_load_dword v11, off, s[16:19], 0 offset:156
	v_add_co_u32 v4, vcc_lo, v4, s5
	v_add_co_ci_u32_e32 v5, vcc_lo, s4, v5, vcc_lo
	ds_read2_b64 v[12:15], v224 offset0:114 offset1:163
	s_waitcnt vmcnt(0)
	v_mul_f32_e32 v8, v11, v23
	v_fmac_f32_e32 v8, v10, v22
	v_cvt_f64_f32_e32 v[8:9], v8
	v_mul_f64 v[8:9], v[8:9], s[2:3]
	v_cvt_f32_f64_e32 v8, v[8:9]
	v_mul_f32_e32 v9, v11, v22
	v_fma_f32 v9, v10, v23, -v9
	v_cvt_f64_f32_e32 v[9:10], v9
	v_mul_f64 v[9:10], v[9:10], s[2:3]
	v_cvt_f32_f64_e32 v9, v[9:10]
	global_store_dwordx2 v[4:5], v[8:9], off
	s_clause 0x1
	buffer_load_dword v10, off, s[16:19], 0 offset:144
	buffer_load_dword v11, off, s[16:19], 0 offset:148
	v_add_co_u32 v4, vcc_lo, v4, s5
	v_add_co_ci_u32_e32 v5, vcc_lo, s4, v5, vcc_lo
	s_waitcnt vmcnt(0) lgkmcnt(0)
	v_mul_f32_e32 v8, v11, v13
	v_fmac_f32_e32 v8, v10, v12
	v_cvt_f64_f32_e32 v[8:9], v8
	v_mul_f64 v[8:9], v[8:9], s[2:3]
	v_cvt_f32_f64_e32 v8, v[8:9]
	v_mul_f32_e32 v9, v11, v12
	v_fma_f32 v9, v10, v13, -v9
	v_cvt_f64_f32_e32 v[9:10], v9
	v_mul_f64 v[9:10], v[9:10], s[2:3]
	v_cvt_f32_f64_e32 v9, v[9:10]
	global_store_dwordx2 v[4:5], v[8:9], off
	s_clause 0x1
	buffer_load_dword v10, off, s[16:19], 0 offset:136
	buffer_load_dword v11, off, s[16:19], 0 offset:140
	v_add_co_u32 v4, vcc_lo, v4, s5
	v_add_co_ci_u32_e32 v5, vcc_lo, s4, v5, vcc_lo
	s_waitcnt vmcnt(0)
	v_mul_f32_e32 v8, v11, v27
	v_fmac_f32_e32 v8, v10, v26
	v_cvt_f64_f32_e32 v[8:9], v8
	v_mul_f64 v[8:9], v[8:9], s[2:3]
	v_cvt_f32_f64_e32 v8, v[8:9]
	v_mul_f32_e32 v9, v11, v26
	v_fma_f32 v9, v10, v27, -v9
	v_cvt_f64_f32_e32 v[9:10], v9
	v_mul_f64 v[9:10], v[9:10], s[2:3]
	v_cvt_f32_f64_e32 v9, v[9:10]
	ds_read2_b64 v[10:13], v222 offset0:32 offset1:81
	global_store_dwordx2 v[4:5], v[8:9], off
	s_clause 0x1
	buffer_load_dword v18, off, s[16:19], 0 offset:128
	buffer_load_dword v19, off, s[16:19], 0 offset:132
	v_add_co_u32 v4, vcc_lo, v4, s5
	v_add_co_ci_u32_e32 v5, vcc_lo, s4, v5, vcc_lo
	s_waitcnt vmcnt(0) lgkmcnt(0)
	v_mul_f32_e32 v8, v19, v11
	v_fmac_f32_e32 v8, v18, v10
	v_cvt_f64_f32_e32 v[8:9], v8
	v_mul_f64 v[8:9], v[8:9], s[2:3]
	v_cvt_f32_f64_e32 v8, v[8:9]
	v_mul_f32_e32 v9, v19, v10
	v_fma_f32 v9, v18, v11, -v9
	v_cvt_f64_f32_e32 v[9:10], v9
	v_mul_f64 v[9:10], v[9:10], s[2:3]
	v_cvt_f32_f64_e32 v9, v[9:10]
	global_store_dwordx2 v[4:5], v[8:9], off
	s_clause 0x1
	buffer_load_dword v10, off, s[16:19], 0 offset:120
	buffer_load_dword v11, off, s[16:19], 0 offset:124
	v_add_co_u32 v4, vcc_lo, v4, s5
	v_add_co_ci_u32_e32 v5, vcc_lo, s4, v5, vcc_lo
	s_waitcnt vmcnt(0)
	v_mul_f32_e32 v8, v11, v17
	v_fmac_f32_e32 v8, v10, v16
	v_cvt_f64_f32_e32 v[8:9], v8
	v_mul_f64 v[8:9], v[8:9], s[2:3]
	v_cvt_f32_f64_e32 v8, v[8:9]
	v_mul_f32_e32 v9, v11, v16
	v_fma_f32 v9, v10, v17, -v9
	v_cvt_f64_f32_e32 v[9:10], v9
	v_mul_f64 v[9:10], v[9:10], s[2:3]
	v_cvt_f32_f64_e32 v9, v[9:10]
	global_store_dwordx2 v[4:5], v[8:9], off
	ds_read2_b64 v[8:11], v119 offset0:206 offset1:255
	s_clause 0x1
	buffer_load_dword v18, off, s[16:19], 0 offset:112
	buffer_load_dword v19, off, s[16:19], 0 offset:116
	v_add_co_u32 v4, vcc_lo, v4, s5
	v_add_co_ci_u32_e32 v5, vcc_lo, s4, v5, vcc_lo
	s_waitcnt vmcnt(0) lgkmcnt(0)
	v_mul_f32_e32 v16, v19, v9
	v_fmac_f32_e32 v16, v18, v8
	v_mul_f32_e32 v8, v19, v8
	v_cvt_f64_f32_e32 v[16:17], v16
	v_fma_f32 v8, v18, v9, -v8
	v_cvt_f64_f32_e32 v[8:9], v8
	v_mul_f64 v[16:17], v[16:17], s[2:3]
	v_mul_f64 v[8:9], v[8:9], s[2:3]
	v_cvt_f32_f64_e32 v16, v[16:17]
	v_cvt_f32_f64_e32 v17, v[8:9]
	global_store_dwordx2 v[4:5], v[16:17], off
	s_clause 0x1
	buffer_load_dword v16, off, s[16:19], 0 offset:96
	buffer_load_dword v17, off, s[16:19], 0 offset:100
	v_add_co_u32 v4, vcc_lo, v4, s0
	v_add_co_ci_u32_e32 v5, vcc_lo, s1, v5, vcc_lo
	s_waitcnt vmcnt(0)
	v_mul_f32_e32 v8, v17, v21
	v_fmac_f32_e32 v8, v16, v20
	v_cvt_f64_f32_e32 v[8:9], v8
	v_mul_f64 v[8:9], v[8:9], s[2:3]
	v_cvt_f32_f64_e32 v8, v[8:9]
	v_mul_f32_e32 v9, v17, v20
	v_fma_f32 v9, v16, v21, -v9
	v_cvt_f64_f32_e32 v[16:17], v9
	v_mul_f64 v[16:17], v[16:17], s[2:3]
	v_cvt_f32_f64_e32 v9, v[16:17]
	ds_read2_b64 v[16:19], v223 offset0:76 offset1:125
	global_store_dwordx2 v[4:5], v[8:9], off
	s_clause 0x1
	buffer_load_dword v20, off, s[16:19], 0 offset:48
	buffer_load_dword v21, off, s[16:19], 0 offset:52
	v_add_co_u32 v4, vcc_lo, v4, s5
	v_add_co_ci_u32_e32 v5, vcc_lo, s4, v5, vcc_lo
	s_waitcnt vmcnt(0) lgkmcnt(0)
	v_mul_f32_e32 v8, v21, v17
	v_fmac_f32_e32 v8, v20, v16
	v_cvt_f64_f32_e32 v[8:9], v8
	v_mul_f64 v[8:9], v[8:9], s[2:3]
	v_cvt_f32_f64_e32 v8, v[8:9]
	v_mul_f32_e32 v9, v21, v16
	v_fma_f32 v9, v20, v17, -v9
	v_cvt_f64_f32_e32 v[16:17], v9
	v_mul_f64 v[16:17], v[16:17], s[2:3]
	v_cvt_f32_f64_e32 v9, v[16:17]
	global_store_dwordx2 v[4:5], v[8:9], off
	s_clause 0x1
	buffer_load_dword v16, off, s[16:19], 0 offset:40
	buffer_load_dword v17, off, s[16:19], 0 offset:44
	v_add_co_u32 v4, vcc_lo, v4, s5
	v_add_co_ci_u32_e32 v5, vcc_lo, s4, v5, vcc_lo
	s_waitcnt vmcnt(0)
	v_mul_f32_e32 v8, v17, v15
	v_fmac_f32_e32 v8, v16, v14
	v_cvt_f64_f32_e32 v[8:9], v8
	v_mul_f64 v[8:9], v[8:9], s[2:3]
	v_cvt_f32_f64_e32 v8, v[8:9]
	v_mul_f32_e32 v9, v17, v14
	v_fma_f32 v9, v16, v15, -v9
	v_cvt_f64_f32_e32 v[14:15], v9
	v_mul_f64 v[14:15], v[14:15], s[2:3]
	v_cvt_f32_f64_e32 v9, v[14:15]
	ds_read2_b64 v[14:17], v226 offset0:122 offset1:171
	global_store_dwordx2 v[4:5], v[8:9], off
	s_clause 0x1
	buffer_load_dword v20, off, s[16:19], 0 offset:24
	buffer_load_dword v21, off, s[16:19], 0 offset:28
	v_add_co_u32 v4, vcc_lo, v4, s5
	v_add_co_ci_u32_e32 v5, vcc_lo, s4, v5, vcc_lo
	s_waitcnt vmcnt(0) lgkmcnt(0)
	v_mul_f32_e32 v8, v21, v15
	v_fmac_f32_e32 v8, v20, v14
	v_cvt_f64_f32_e32 v[8:9], v8
	v_mul_f64 v[8:9], v[8:9], s[2:3]
	v_cvt_f32_f64_e32 v8, v[8:9]
	v_mul_f32_e32 v9, v21, v14
	v_fma_f32 v9, v20, v15, -v9
	v_cvt_f64_f32_e32 v[14:15], v9
	v_mul_f64 v[14:15], v[14:15], s[2:3]
	;; [unrolled: 35-line block ×3, first 2 shown]
	v_cvt_f32_f64_e32 v9, v[12:13]
	global_store_dwordx2 v[4:5], v[8:9], off
	s_clause 0x1
	buffer_load_dword v12, off, s[16:19], 0
	buffer_load_dword v13, off, s[16:19], 0 offset:4
	v_add_co_u32 v4, vcc_lo, v4, s5
	v_add_co_ci_u32_e32 v5, vcc_lo, s4, v5, vcc_lo
	s_waitcnt vmcnt(0)
	v_mul_f32_e32 v8, v13, v11
	v_fmac_f32_e32 v8, v12, v10
	v_cvt_f64_f32_e32 v[8:9], v8
	v_mul_f64 v[8:9], v[8:9], s[2:3]
	v_cvt_f32_f64_e32 v8, v[8:9]
	v_mul_f32_e32 v9, v13, v10
	v_fma_f32 v9, v12, v11, -v9
	v_cvt_f64_f32_e32 v[9:10], v9
	v_mul_f64 v[9:10], v[9:10], s[2:3]
	v_cvt_f32_f64_e32 v9, v[9:10]
	global_store_dwordx2 v[4:5], v[8:9], off
	s_clause 0x1
	buffer_load_dword v9, off, s[16:19], 0 offset:72
	buffer_load_dword v10, off, s[16:19], 0 offset:76
	v_add_co_u32 v4, vcc_lo, v4, s0
	v_add_co_ci_u32_e32 v5, vcc_lo, s1, v5, vcc_lo
	s_waitcnt vmcnt(0)
	v_mul_f32_e32 v8, v10, v7
	v_mov_b32_e32 v11, v10
	v_mov_b32_e32 v10, v9
	v_fmac_f32_e32 v8, v9, v6
	v_mul_f32_e32 v6, v11, v6
	v_cvt_f64_f32_e32 v[8:9], v8
	v_fma_f32 v6, v10, v7, -v6
	v_cvt_f64_f32_e32 v[6:7], v6
	v_mul_f64 v[8:9], v[8:9], s[2:3]
	v_mul_f64 v[6:7], v[6:7], s[2:3]
	v_cvt_f32_f64_e32 v8, v[8:9]
	v_cvt_f32_f64_e32 v9, v[6:7]
	global_store_dwordx2 v[4:5], v[8:9], off
	s_clause 0x1
	buffer_load_dword v7, off, s[16:19], 0 offset:56
	buffer_load_dword v8, off, s[16:19], 0 offset:60
	v_add_co_u32 v4, vcc_lo, v4, s5
	v_add_co_ci_u32_e32 v5, vcc_lo, s4, v5, vcc_lo
	s_waitcnt vmcnt(0)
	v_mul_f32_e32 v6, v8, v19
	v_mov_b32_e32 v9, v8
	v_mov_b32_e32 v8, v7
	v_fmac_f32_e32 v6, v7, v18
	v_cvt_f64_f32_e32 v[6:7], v6
	v_mul_f64 v[6:7], v[6:7], s[2:3]
	v_cvt_f32_f64_e32 v6, v[6:7]
	v_mul_f32_e32 v7, v9, v18
	v_fma_f32 v7, v8, v19, -v7
	v_cvt_f64_f32_e32 v[7:8], v7
	v_mul_f64 v[7:8], v[7:8], s[2:3]
	v_cvt_f32_f64_e32 v7, v[7:8]
	global_store_dwordx2 v[4:5], v[6:7], off
	s_clause 0x1
	buffer_load_dword v8, off, s[16:19], 0 offset:32
	buffer_load_dword v9, off, s[16:19], 0 offset:36
	s_waitcnt vmcnt(0)
	v_mul_f32_e32 v6, v9, v1
	v_fmac_f32_e32 v6, v8, v0
	v_mul_f32_e32 v0, v9, v0
	v_cvt_f64_f32_e32 v[6:7], v6
	v_fma_f32 v0, v8, v1, -v0
	v_cvt_f64_f32_e32 v[0:1], v0
	v_mul_f64 v[6:7], v[6:7], s[2:3]
	v_mul_f64 v[0:1], v[0:1], s[2:3]
	v_cvt_f32_f64_e32 v6, v[6:7]
	v_cvt_f32_f64_e32 v7, v[0:1]
	v_add_co_u32 v0, vcc_lo, v4, s5
	v_add_co_ci_u32_e32 v1, vcc_lo, s4, v5, vcc_lo
	global_store_dwordx2 v[0:1], v[6:7], off
	s_clause 0x1
	buffer_load_dword v6, off, s[16:19], 0 offset:64
	buffer_load_dword v7, off, s[16:19], 0 offset:68
	v_add_co_u32 v0, vcc_lo, v0, s5
	v_add_co_ci_u32_e32 v1, vcc_lo, s4, v1, vcc_lo
	s_waitcnt vmcnt(0)
	v_mul_f32_e32 v4, v7, v17
	v_fmac_f32_e32 v4, v6, v16
	v_cvt_f64_f32_e32 v[4:5], v4
	v_mul_f64 v[4:5], v[4:5], s[2:3]
	v_cvt_f32_f64_e32 v4, v[4:5]
	v_mul_f32_e32 v5, v7, v16
	v_fma_f32 v5, v6, v17, -v5
	v_cvt_f64_f32_e32 v[5:6], v5
	v_mul_f64 v[5:6], v[5:6], s[2:3]
	v_cvt_f32_f64_e32 v5, v[5:6]
	global_store_dwordx2 v[0:1], v[4:5], off
	s_clause 0x1
	buffer_load_dword v6, off, s[16:19], 0 offset:88
	buffer_load_dword v7, off, s[16:19], 0 offset:92
	v_add_co_u32 v0, vcc_lo, v0, s5
	v_add_co_ci_u32_e32 v1, vcc_lo, s4, v1, vcc_lo
	s_waitcnt vmcnt(0)
	v_mul_f32_e32 v4, v7, v3
	v_fmac_f32_e32 v4, v6, v2
	v_mul_f32_e32 v2, v7, v2
	v_cvt_f64_f32_e32 v[4:5], v4
	v_fma_f32 v2, v6, v3, -v2
	v_cvt_f64_f32_e32 v[2:3], v2
	v_mul_f64 v[4:5], v[4:5], s[2:3]
	v_mul_f64 v[2:3], v[2:3], s[2:3]
	v_cvt_f32_f64_e32 v4, v[4:5]
	v_cvt_f32_f64_e32 v5, v[2:3]
	global_store_dwordx2 v[0:1], v[4:5], off
	s_clause 0x1
	buffer_load_dword v4, off, s[16:19], 0 offset:104
	buffer_load_dword v5, off, s[16:19], 0 offset:108
	v_add_co_u32 v0, vcc_lo, v0, s5
	v_add_co_ci_u32_e32 v1, vcc_lo, s4, v1, vcc_lo
	s_waitcnt vmcnt(0)
	v_mul_f32_e32 v2, v5, v15
	v_fmac_f32_e32 v2, v4, v14
	v_cvt_f64_f32_e32 v[2:3], v2
	v_mul_f64 v[2:3], v[2:3], s[2:3]
	v_cvt_f32_f64_e32 v2, v[2:3]
	v_mul_f32_e32 v3, v5, v14
	v_fma_f32 v3, v4, v15, -v3
	v_cvt_f64_f32_e32 v[3:4], v3
	v_mul_f64 v[3:4], v[3:4], s[2:3]
	v_cvt_f32_f64_e32 v3, v[3:4]
	global_store_dwordx2 v[0:1], v[2:3], off
	ds_read_b64 v[2:3], v100 offset:18816
	s_clause 0x1
	buffer_load_dword v5, off, s[16:19], 0 offset:80
	buffer_load_dword v6, off, s[16:19], 0 offset:84
	v_add_co_u32 v0, vcc_lo, v0, s5
	v_add_co_ci_u32_e32 v1, vcc_lo, s4, v1, vcc_lo
	s_waitcnt vmcnt(0) lgkmcnt(0)
	v_mul_f32_e32 v4, v6, v3
	v_mov_b32_e32 v7, v6
	v_mov_b32_e32 v6, v5
	v_fmac_f32_e32 v4, v5, v2
	v_mul_f32_e32 v2, v7, v2
	v_cvt_f64_f32_e32 v[4:5], v4
	v_fma_f32 v2, v6, v3, -v2
	v_cvt_f64_f32_e32 v[2:3], v2
	v_mul_f64 v[4:5], v[4:5], s[2:3]
	v_mul_f64 v[2:3], v[2:3], s[2:3]
	v_cvt_f32_f64_e32 v4, v[4:5]
	v_cvt_f32_f64_e32 v5, v[2:3]
	global_store_dwordx2 v[0:1], v[4:5], off
.LBB0_2:
	s_endpgm
	.section	.rodata,"a",@progbits
	.p2align	6, 0x0
	.amdhsa_kernel bluestein_single_fwd_len2401_dim1_sp_op_CI_CI
		.amdhsa_group_segment_fixed_size 19208
		.amdhsa_private_segment_fixed_size 1000
		.amdhsa_kernarg_size 104
		.amdhsa_user_sgpr_count 6
		.amdhsa_user_sgpr_private_segment_buffer 1
		.amdhsa_user_sgpr_dispatch_ptr 0
		.amdhsa_user_sgpr_queue_ptr 0
		.amdhsa_user_sgpr_kernarg_segment_ptr 1
		.amdhsa_user_sgpr_dispatch_id 0
		.amdhsa_user_sgpr_flat_scratch_init 0
		.amdhsa_user_sgpr_private_segment_size 0
		.amdhsa_wavefront_size32 1
		.amdhsa_uses_dynamic_stack 0
		.amdhsa_system_sgpr_private_segment_wavefront_offset 1
		.amdhsa_system_sgpr_workgroup_id_x 1
		.amdhsa_system_sgpr_workgroup_id_y 0
		.amdhsa_system_sgpr_workgroup_id_z 0
		.amdhsa_system_sgpr_workgroup_info 0
		.amdhsa_system_vgpr_workitem_id 0
		.amdhsa_next_free_vgpr 256
		.amdhsa_next_free_sgpr 20
		.amdhsa_reserve_vcc 1
		.amdhsa_reserve_flat_scratch 0
		.amdhsa_float_round_mode_32 0
		.amdhsa_float_round_mode_16_64 0
		.amdhsa_float_denorm_mode_32 3
		.amdhsa_float_denorm_mode_16_64 3
		.amdhsa_dx10_clamp 1
		.amdhsa_ieee_mode 1
		.amdhsa_fp16_overflow 0
		.amdhsa_workgroup_processor_mode 1
		.amdhsa_memory_ordered 1
		.amdhsa_forward_progress 0
		.amdhsa_shared_vgpr_count 0
		.amdhsa_exception_fp_ieee_invalid_op 0
		.amdhsa_exception_fp_denorm_src 0
		.amdhsa_exception_fp_ieee_div_zero 0
		.amdhsa_exception_fp_ieee_overflow 0
		.amdhsa_exception_fp_ieee_underflow 0
		.amdhsa_exception_fp_ieee_inexact 0
		.amdhsa_exception_int_div_zero 0
	.end_amdhsa_kernel
	.text
.Lfunc_end0:
	.size	bluestein_single_fwd_len2401_dim1_sp_op_CI_CI, .Lfunc_end0-bluestein_single_fwd_len2401_dim1_sp_op_CI_CI
                                        ; -- End function
	.section	.AMDGPU.csdata,"",@progbits
; Kernel info:
; codeLenInByte = 52020
; NumSgprs: 22
; NumVgprs: 256
; ScratchSize: 1000
; MemoryBound: 0
; FloatMode: 240
; IeeeMode: 1
; LDSByteSize: 19208 bytes/workgroup (compile time only)
; SGPRBlocks: 2
; VGPRBlocks: 31
; NumSGPRsForWavesPerEU: 22
; NumVGPRsForWavesPerEU: 256
; Occupancy: 3
; WaveLimiterHint : 1
; COMPUTE_PGM_RSRC2:SCRATCH_EN: 1
; COMPUTE_PGM_RSRC2:USER_SGPR: 6
; COMPUTE_PGM_RSRC2:TRAP_HANDLER: 0
; COMPUTE_PGM_RSRC2:TGID_X_EN: 1
; COMPUTE_PGM_RSRC2:TGID_Y_EN: 0
; COMPUTE_PGM_RSRC2:TGID_Z_EN: 0
; COMPUTE_PGM_RSRC2:TIDIG_COMP_CNT: 0
	.text
	.p2alignl 6, 3214868480
	.fill 48, 4, 3214868480
	.type	__hip_cuid_140a60d3703a383f,@object ; @__hip_cuid_140a60d3703a383f
	.section	.bss,"aw",@nobits
	.globl	__hip_cuid_140a60d3703a383f
__hip_cuid_140a60d3703a383f:
	.byte	0                               ; 0x0
	.size	__hip_cuid_140a60d3703a383f, 1

	.ident	"AMD clang version 19.0.0git (https://github.com/RadeonOpenCompute/llvm-project roc-6.4.0 25133 c7fe45cf4b819c5991fe208aaa96edf142730f1d)"
	.section	".note.GNU-stack","",@progbits
	.addrsig
	.addrsig_sym __hip_cuid_140a60d3703a383f
	.amdgpu_metadata
---
amdhsa.kernels:
  - .args:
      - .actual_access:  read_only
        .address_space:  global
        .offset:         0
        .size:           8
        .value_kind:     global_buffer
      - .actual_access:  read_only
        .address_space:  global
        .offset:         8
        .size:           8
        .value_kind:     global_buffer
      - .actual_access:  read_only
        .address_space:  global
        .offset:         16
        .size:           8
        .value_kind:     global_buffer
      - .actual_access:  read_only
        .address_space:  global
        .offset:         24
        .size:           8
        .value_kind:     global_buffer
      - .actual_access:  read_only
        .address_space:  global
        .offset:         32
        .size:           8
        .value_kind:     global_buffer
      - .offset:         40
        .size:           8
        .value_kind:     by_value
      - .address_space:  global
        .offset:         48
        .size:           8
        .value_kind:     global_buffer
      - .address_space:  global
        .offset:         56
        .size:           8
        .value_kind:     global_buffer
      - .address_space:  global
        .offset:         64
        .size:           8
        .value_kind:     global_buffer
      - .address_space:  global
        .offset:         72
        .size:           8
        .value_kind:     global_buffer
      - .offset:         80
        .size:           4
        .value_kind:     by_value
      - .address_space:  global
        .offset:         88
        .size:           8
        .value_kind:     global_buffer
      - .address_space:  global
        .offset:         96
        .size:           8
        .value_kind:     global_buffer
    .group_segment_fixed_size: 19208
    .kernarg_segment_align: 8
    .kernarg_segment_size: 104
    .language:       OpenCL C
    .language_version:
      - 2
      - 0
    .max_flat_workgroup_size: 49
    .name:           bluestein_single_fwd_len2401_dim1_sp_op_CI_CI
    .private_segment_fixed_size: 1000
    .sgpr_count:     22
    .sgpr_spill_count: 0
    .symbol:         bluestein_single_fwd_len2401_dim1_sp_op_CI_CI.kd
    .uniform_work_group_size: 1
    .uses_dynamic_stack: false
    .vgpr_count:     256
    .vgpr_spill_count: 252
    .wavefront_size: 32
    .workgroup_processor_mode: 1
amdhsa.target:   amdgcn-amd-amdhsa--gfx1030
amdhsa.version:
  - 1
  - 2
...

	.end_amdgpu_metadata
